;; amdgpu-corpus repo=ROCm/rocFFT kind=compiled arch=gfx1030 opt=O3
	.text
	.amdgcn_target "amdgcn-amd-amdhsa--gfx1030"
	.amdhsa_code_object_version 6
	.protected	fft_rtc_back_len320_factors_10_4_4_2_wgs_64_tpt_16_halfLds_sp_op_CI_CI_sbrr_dirReg ; -- Begin function fft_rtc_back_len320_factors_10_4_4_2_wgs_64_tpt_16_halfLds_sp_op_CI_CI_sbrr_dirReg
	.globl	fft_rtc_back_len320_factors_10_4_4_2_wgs_64_tpt_16_halfLds_sp_op_CI_CI_sbrr_dirReg
	.p2align	8
	.type	fft_rtc_back_len320_factors_10_4_4_2_wgs_64_tpt_16_halfLds_sp_op_CI_CI_sbrr_dirReg,@function
fft_rtc_back_len320_factors_10_4_4_2_wgs_64_tpt_16_halfLds_sp_op_CI_CI_sbrr_dirReg: ; @fft_rtc_back_len320_factors_10_4_4_2_wgs_64_tpt_16_halfLds_sp_op_CI_CI_sbrr_dirReg
; %bb.0:
	s_clause 0x2
	s_load_dwordx4 s[16:19], s[4:5], 0x18
	s_load_dwordx4 s[12:15], s[4:5], 0x0
	;; [unrolled: 1-line block ×3, first 2 shown]
	v_lshrrev_b32_e32 v10, 4, v0
	v_mov_b32_e32 v1, 0
	v_mov_b32_e32 v19, 0
	;; [unrolled: 1-line block ×3, first 2 shown]
	s_waitcnt lgkmcnt(0)
	s_load_dwordx2 s[20:21], s[16:17], 0x0
	s_load_dwordx2 s[2:3], s[18:19], 0x0
	v_cmp_lt_u64_e64 s0, s[14:15], 2
	v_lshl_or_b32 v7, s6, 2, v10
	v_mov_b32_e32 v8, v1
	s_and_b32 vcc_lo, exec_lo, s0
	s_cbranch_vccnz .LBB0_8
; %bb.1:
	s_load_dwordx2 s[0:1], s[4:5], 0x10
	v_mov_b32_e32 v19, 0
	v_mov_b32_e32 v20, 0
	s_add_u32 s6, s18, 8
	s_addc_u32 s7, s19, 0
	v_mov_b32_e32 v3, v19
	s_add_u32 s22, s16, 8
	v_mov_b32_e32 v4, v20
	s_addc_u32 s23, s17, 0
	s_mov_b64 s[26:27], 1
	s_waitcnt lgkmcnt(0)
	s_add_u32 s24, s0, 8
	s_addc_u32 s25, s1, 0
.LBB0_2:                                ; =>This Inner Loop Header: Depth=1
	s_load_dwordx2 s[28:29], s[24:25], 0x0
                                        ; implicit-def: $vgpr5_vgpr6
	s_mov_b32 s0, exec_lo
	s_waitcnt lgkmcnt(0)
	v_or_b32_e32 v2, s29, v8
	v_cmpx_ne_u64_e32 0, v[1:2]
	s_xor_b32 s1, exec_lo, s0
	s_cbranch_execz .LBB0_4
; %bb.3:                                ;   in Loop: Header=BB0_2 Depth=1
	v_cvt_f32_u32_e32 v2, s28
	v_cvt_f32_u32_e32 v5, s29
	s_sub_u32 s0, 0, s28
	s_subb_u32 s30, 0, s29
	v_fmac_f32_e32 v2, 0x4f800000, v5
	v_rcp_f32_e32 v2, v2
	v_mul_f32_e32 v2, 0x5f7ffffc, v2
	v_mul_f32_e32 v5, 0x2f800000, v2
	v_trunc_f32_e32 v5, v5
	v_fmac_f32_e32 v2, 0xcf800000, v5
	v_cvt_u32_f32_e32 v5, v5
	v_cvt_u32_f32_e32 v2, v2
	v_mul_lo_u32 v6, s0, v5
	v_mul_hi_u32 v9, s0, v2
	v_mul_lo_u32 v11, s30, v2
	v_add_nc_u32_e32 v6, v9, v6
	v_mul_lo_u32 v9, s0, v2
	v_add_nc_u32_e32 v6, v6, v11
	v_mul_hi_u32 v11, v2, v9
	v_mul_lo_u32 v12, v2, v6
	v_mul_hi_u32 v13, v2, v6
	v_mul_hi_u32 v14, v5, v9
	v_mul_lo_u32 v9, v5, v9
	v_mul_hi_u32 v15, v5, v6
	v_mul_lo_u32 v6, v5, v6
	v_add_co_u32 v11, vcc_lo, v11, v12
	v_add_co_ci_u32_e32 v12, vcc_lo, 0, v13, vcc_lo
	v_add_co_u32 v9, vcc_lo, v11, v9
	v_add_co_ci_u32_e32 v9, vcc_lo, v12, v14, vcc_lo
	v_add_co_ci_u32_e32 v11, vcc_lo, 0, v15, vcc_lo
	v_add_co_u32 v6, vcc_lo, v9, v6
	v_add_co_ci_u32_e32 v9, vcc_lo, 0, v11, vcc_lo
	v_add_co_u32 v2, vcc_lo, v2, v6
	v_add_co_ci_u32_e32 v5, vcc_lo, v5, v9, vcc_lo
	v_mul_hi_u32 v6, s0, v2
	v_mul_lo_u32 v11, s30, v2
	v_mul_lo_u32 v9, s0, v5
	v_add_nc_u32_e32 v6, v6, v9
	v_mul_lo_u32 v9, s0, v2
	v_add_nc_u32_e32 v6, v6, v11
	v_mul_hi_u32 v11, v2, v9
	v_mul_lo_u32 v12, v2, v6
	v_mul_hi_u32 v13, v2, v6
	v_mul_hi_u32 v14, v5, v9
	v_mul_lo_u32 v9, v5, v9
	v_mul_hi_u32 v15, v5, v6
	v_mul_lo_u32 v6, v5, v6
	v_add_co_u32 v11, vcc_lo, v11, v12
	v_add_co_ci_u32_e32 v12, vcc_lo, 0, v13, vcc_lo
	v_add_co_u32 v9, vcc_lo, v11, v9
	v_add_co_ci_u32_e32 v9, vcc_lo, v12, v14, vcc_lo
	v_add_co_ci_u32_e32 v11, vcc_lo, 0, v15, vcc_lo
	v_add_co_u32 v6, vcc_lo, v9, v6
	v_add_co_ci_u32_e32 v9, vcc_lo, 0, v11, vcc_lo
	v_add_co_u32 v2, vcc_lo, v2, v6
	v_add_co_ci_u32_e32 v9, vcc_lo, v5, v9, vcc_lo
	v_mul_hi_u32 v15, v7, v2
	v_mad_u64_u32 v[11:12], null, v8, v2, 0
	v_mad_u64_u32 v[5:6], null, v7, v9, 0
	v_mad_u64_u32 v[13:14], null, v8, v9, 0
	v_add_co_u32 v2, vcc_lo, v15, v5
	v_add_co_ci_u32_e32 v5, vcc_lo, 0, v6, vcc_lo
	v_add_co_u32 v2, vcc_lo, v2, v11
	v_add_co_ci_u32_e32 v2, vcc_lo, v5, v12, vcc_lo
	v_add_co_ci_u32_e32 v5, vcc_lo, 0, v14, vcc_lo
	v_add_co_u32 v2, vcc_lo, v2, v13
	v_add_co_ci_u32_e32 v9, vcc_lo, 0, v5, vcc_lo
	v_mul_lo_u32 v11, s29, v2
	v_mad_u64_u32 v[5:6], null, s28, v2, 0
	v_mul_lo_u32 v12, s28, v9
	v_sub_co_u32 v5, vcc_lo, v7, v5
	v_add3_u32 v6, v6, v12, v11
	v_sub_nc_u32_e32 v11, v8, v6
	v_subrev_co_ci_u32_e64 v11, s0, s29, v11, vcc_lo
	v_add_co_u32 v12, s0, v2, 2
	v_add_co_ci_u32_e64 v13, s0, 0, v9, s0
	v_sub_co_u32 v14, s0, v5, s28
	v_sub_co_ci_u32_e32 v6, vcc_lo, v8, v6, vcc_lo
	v_subrev_co_ci_u32_e64 v11, s0, 0, v11, s0
	v_cmp_le_u32_e32 vcc_lo, s28, v14
	v_cmp_eq_u32_e64 s0, s29, v6
	v_cndmask_b32_e64 v14, 0, -1, vcc_lo
	v_cmp_le_u32_e32 vcc_lo, s29, v11
	v_cndmask_b32_e64 v15, 0, -1, vcc_lo
	v_cmp_le_u32_e32 vcc_lo, s28, v5
	;; [unrolled: 2-line block ×3, first 2 shown]
	v_cndmask_b32_e64 v16, 0, -1, vcc_lo
	v_cmp_eq_u32_e32 vcc_lo, s29, v11
	v_cndmask_b32_e64 v5, v16, v5, s0
	v_cndmask_b32_e32 v11, v15, v14, vcc_lo
	v_add_co_u32 v14, vcc_lo, v2, 1
	v_add_co_ci_u32_e32 v15, vcc_lo, 0, v9, vcc_lo
	v_cmp_ne_u32_e32 vcc_lo, 0, v11
	v_cndmask_b32_e32 v6, v15, v13, vcc_lo
	v_cndmask_b32_e32 v11, v14, v12, vcc_lo
	v_cmp_ne_u32_e32 vcc_lo, 0, v5
	v_cndmask_b32_e32 v6, v9, v6, vcc_lo
	v_cndmask_b32_e32 v5, v2, v11, vcc_lo
.LBB0_4:                                ;   in Loop: Header=BB0_2 Depth=1
	s_andn2_saveexec_b32 s0, s1
	s_cbranch_execz .LBB0_6
; %bb.5:                                ;   in Loop: Header=BB0_2 Depth=1
	v_cvt_f32_u32_e32 v2, s28
	s_sub_i32 s1, 0, s28
	v_rcp_iflag_f32_e32 v2, v2
	v_mul_f32_e32 v2, 0x4f7ffffe, v2
	v_cvt_u32_f32_e32 v2, v2
	v_mul_lo_u32 v5, s1, v2
	v_mul_hi_u32 v5, v2, v5
	v_add_nc_u32_e32 v2, v2, v5
	v_mul_hi_u32 v2, v7, v2
	v_mul_lo_u32 v5, v2, s28
	v_add_nc_u32_e32 v6, 1, v2
	v_sub_nc_u32_e32 v5, v7, v5
	v_subrev_nc_u32_e32 v9, s28, v5
	v_cmp_le_u32_e32 vcc_lo, s28, v5
	v_cndmask_b32_e32 v5, v5, v9, vcc_lo
	v_cndmask_b32_e32 v2, v2, v6, vcc_lo
	v_cmp_le_u32_e32 vcc_lo, s28, v5
	v_add_nc_u32_e32 v6, 1, v2
	v_cndmask_b32_e32 v5, v2, v6, vcc_lo
	v_mov_b32_e32 v6, v1
.LBB0_6:                                ;   in Loop: Header=BB0_2 Depth=1
	s_or_b32 exec_lo, exec_lo, s0
	v_mul_lo_u32 v2, v6, s28
	v_mul_lo_u32 v9, v5, s29
	s_load_dwordx2 s[0:1], s[22:23], 0x0
	v_mad_u64_u32 v[11:12], null, v5, s28, 0
	s_load_dwordx2 s[28:29], s[6:7], 0x0
	s_add_u32 s26, s26, 1
	s_addc_u32 s27, s27, 0
	s_add_u32 s6, s6, 8
	s_addc_u32 s7, s7, 0
	s_add_u32 s22, s22, 8
	v_add3_u32 v2, v12, v9, v2
	v_sub_co_u32 v7, vcc_lo, v7, v11
	s_addc_u32 s23, s23, 0
	s_add_u32 s24, s24, 8
	v_sub_co_ci_u32_e32 v2, vcc_lo, v8, v2, vcc_lo
	s_addc_u32 s25, s25, 0
	s_waitcnt lgkmcnt(0)
	v_mul_lo_u32 v8, s0, v2
	v_mul_lo_u32 v9, s1, v7
	v_mad_u64_u32 v[19:20], null, s0, v7, v[19:20]
	v_mul_lo_u32 v2, s28, v2
	v_mul_lo_u32 v11, s29, v7
	v_mad_u64_u32 v[3:4], null, s28, v7, v[3:4]
	v_cmp_ge_u64_e64 s0, s[26:27], s[14:15]
	v_add3_u32 v20, v9, v20, v8
	v_add3_u32 v4, v11, v4, v2
	s_and_b32 vcc_lo, exec_lo, s0
	s_cbranch_vccnz .LBB0_9
; %bb.7:                                ;   in Loop: Header=BB0_2 Depth=1
	v_mov_b32_e32 v8, v6
	v_mov_b32_e32 v7, v5
	s_branch .LBB0_2
.LBB0_8:
	v_mov_b32_e32 v3, v19
	v_mov_b32_e32 v5, v7
	;; [unrolled: 1-line block ×4, first 2 shown]
.LBB0_9:
	s_load_dwordx2 s[0:1], s[4:5], 0x28
	s_lshl_b64 s[6:7], s[14:15], 3
	v_and_b32_e32 v1, 15, v0
	s_add_u32 s4, s18, s6
	s_addc_u32 s5, s19, s7
                                        ; implicit-def: $vgpr13
                                        ; implicit-def: $vgpr15
                                        ; implicit-def: $vgpr9
                                        ; implicit-def: $vgpr7
                                        ; implicit-def: $vgpr16
                                        ; implicit-def: $vgpr14
                                        ; implicit-def: $vgpr11
                                        ; implicit-def: $vgpr8
                                        ; implicit-def: $vgpr18
	s_waitcnt lgkmcnt(0)
	v_cmp_gt_u64_e32 vcc_lo, s[0:1], v[5:6]
	v_cmp_le_u64_e64 s0, s[0:1], v[5:6]
	s_and_saveexec_b32 s1, s0
	s_xor_b32 s0, exec_lo, s1
; %bb.10:
	v_and_b32_e32 v1, 15, v0
                                        ; implicit-def: $vgpr19_vgpr20
	v_or_b32_e32 v13, 16, v1
	v_or_b32_e32 v15, 0x50, v1
	;; [unrolled: 1-line block ×9, first 2 shown]
; %bb.11:
	s_or_saveexec_b32 s1, s0
                                        ; implicit-def: $vgpr23
                                        ; implicit-def: $vgpr41
                                        ; implicit-def: $vgpr47
                                        ; implicit-def: $vgpr51
                                        ; implicit-def: $vgpr53
                                        ; implicit-def: $vgpr49
                                        ; implicit-def: $vgpr43
                                        ; implicit-def: $vgpr45
                                        ; implicit-def: $vgpr21
                                        ; implicit-def: $vgpr29
                                        ; implicit-def: $vgpr57
                                        ; implicit-def: $vgpr35
                                        ; implicit-def: $vgpr27
                                        ; implicit-def: $vgpr37
                                        ; implicit-def: $vgpr31
                                        ; implicit-def: $vgpr33
                                        ; implicit-def: $vgpr39
                                        ; implicit-def: $vgpr25
                                        ; implicit-def: $vgpr55
                                        ; implicit-def: $vgpr59
	s_xor_b32 exec_lo, exec_lo, s1
	s_cbranch_execz .LBB0_13
; %bb.12:
	s_add_u32 s6, s16, s6
	s_addc_u32 s7, s17, s7
	v_mad_u64_u32 v[12:13], null, s20, v1, 0
	s_load_dwordx2 s[6:7], s[6:7], 0x0
	v_or_b32_e32 v7, 32, v1
	v_or_b32_e32 v9, 0x60, v1
	;; [unrolled: 1-line block ×3, first 2 shown]
	v_lshlrev_b64 v[14:15], 3, v[19:20]
	v_or_b32_e32 v11, 0x80, v1
	v_mad_u64_u32 v[16:17], null, s20, v7, 0
	v_mov_b32_e32 v0, v13
	v_mad_u64_u32 v[20:21], null, s20, v9, 0
	v_mad_u64_u32 v[18:19], null, s20, v8, 0
	;; [unrolled: 1-line block ×3, first 2 shown]
	v_mov_b32_e32 v0, v17
	v_mad_u64_u32 v[25:26], null, s20, v11, 0
	v_mov_b32_e32 v17, v21
	v_mov_b32_e32 v2, v19
	s_waitcnt lgkmcnt(0)
	v_mul_lo_u32 v13, s7, v5
	v_mul_lo_u32 v27, s6, v6
	v_mad_u64_u32 v[22:23], null, s6, v5, 0
	v_add3_u32 v23, v23, v27, v13
	v_mad_u64_u32 v[27:28], null, s21, v7, v[0:1]
	v_mov_b32_e32 v13, v24
	v_mad_u64_u32 v[28:29], null, s21, v8, v[2:3]
	v_lshlrev_b64 v[21:22], 3, v[22:23]
	v_mad_u64_u32 v[23:24], null, s21, v9, v[17:18]
	v_mov_b32_e32 v17, v27
	v_lshlrev_b64 v[12:13], 3, v[12:13]
	v_add_co_u32 v0, s0, s8, v21
	v_add_co_ci_u32_e64 v2, s0, s9, v22, s0
	v_mov_b32_e32 v19, v28
	v_add_co_u32 v58, s0, v0, v14
	v_add_co_ci_u32_e64 v59, s0, v2, v15, s0
	v_lshlrev_b64 v[14:15], 3, v[16:17]
	v_add_co_u32 v27, s0, v58, v12
	v_or_b32_e32 v2, 0xa0, v1
	v_mov_b32_e32 v0, v26
	v_add_co_ci_u32_e64 v28, s0, v59, v13, s0
	v_add_co_u32 v29, s0, v58, v14
	v_add_co_ci_u32_e64 v30, s0, v59, v15, s0
	v_mad_u64_u32 v[14:15], null, s20, v2, 0
	v_mad_u64_u32 v[16:17], null, s21, v11, v[0:1]
	v_mov_b32_e32 v21, v23
	v_or_b32_e32 v23, 0xc0, v1
	v_lshlrev_b64 v[12:13], 3, v[18:19]
	v_mov_b32_e32 v0, v15
	v_mov_b32_e32 v26, v16
	v_mad_u64_u32 v[16:17], null, s20, v23, 0
	v_mad_u64_u32 v[18:19], null, s21, v2, v[0:1]
	v_add_co_u32 v31, s0, v58, v12
	v_or_b32_e32 v2, 0xe0, v1
	v_add_co_ci_u32_e64 v32, s0, v59, v13, s0
	v_lshlrev_b64 v[12:13], 3, v[20:21]
	v_mov_b32_e32 v0, v17
	v_mad_u64_u32 v[21:22], null, s20, v2, 0
	v_mov_b32_e32 v15, v18
	v_mad_u64_u32 v[17:18], null, s21, v23, v[0:1]
	v_add_co_u32 v19, s0, v58, v12
	v_or_b32_e32 v18, 0x100, v1
	v_add_co_ci_u32_e64 v20, s0, v59, v13, s0
	v_lshlrev_b64 v[12:13], 3, v[25:26]
	v_mov_b32_e32 v0, v22
	v_mad_u64_u32 v[33:34], null, s20, v18, 0
	v_add_co_u32 v24, s0, v58, v12
	v_add_co_ci_u32_e64 v25, s0, v59, v13, s0
	v_lshlrev_b64 v[12:13], 3, v[14:15]
	v_mad_u64_u32 v[14:15], null, s21, v2, v[0:1]
	v_mov_b32_e32 v0, v34
	v_or_b32_e32 v2, 0x120, v1
	v_add_co_u32 v35, s0, v58, v12
	v_add_co_ci_u32_e64 v36, s0, v59, v13, s0
	v_mov_b32_e32 v22, v14
	v_mad_u64_u32 v[14:15], null, s21, v18, v[0:1]
	v_lshlrev_b64 v[12:13], 3, v[16:17]
	v_mad_u64_u32 v[15:16], null, s20, v2, 0
	v_lshlrev_b64 v[17:18], 3, v[21:22]
	v_mov_b32_e32 v34, v14
	v_or_b32_e32 v14, 48, v1
	v_add_co_u32 v37, s0, v58, v12
	v_mov_b32_e32 v0, v16
	v_add_co_ci_u32_e64 v38, s0, v59, v13, s0
	v_add_co_u32 v42, s0, v58, v17
	v_mad_u64_u32 v[39:40], null, s21, v2, v[0:1]
	v_mad_u64_u32 v[40:41], null, s20, v14, 0
	v_add_co_ci_u32_e64 v43, s0, v59, v18, s0
	v_lshlrev_b64 v[17:18], 3, v[33:34]
	v_or_b32_e32 v13, 16, v1
	v_mov_b32_e32 v16, v39
	v_or_b32_e32 v12, 0xb0, v1
	v_mov_b32_e32 v2, v41
	v_add_co_u32 v44, s0, v58, v17
	v_lshlrev_b64 v[15:16], 3, v[15:16]
	v_mad_u64_u32 v[33:34], null, s21, v14, v[2:3]
	v_add_co_ci_u32_e64 v45, s0, v59, v18, s0
	v_mad_u64_u32 v[21:22], null, s20, v13, 0
	v_add_co_u32 v56, s0, v58, v15
	v_or_b32_e32 v15, 0x50, v1
	v_add_co_ci_u32_e64 v57, s0, v59, v16, s0
	v_mov_b32_e32 v41, v33
	v_or_b32_e32 v16, 0x70, v1
	v_mad_u64_u32 v[33:34], null, s20, v15, 0
	v_mov_b32_e32 v0, v22
	v_lshlrev_b64 v[39:40], 3, v[40:41]
	v_mad_u64_u32 v[46:47], null, s20, v16, 0
	v_or_b32_e32 v18, 0x90, v1
	v_mad_u64_u32 v[22:23], null, s21, v13, v[0:1]
	v_mov_b32_e32 v0, v34
	v_or_b32_e32 v17, 0xf0, v1
	v_mov_b32_e32 v2, v47
	v_mad_u64_u32 v[47:48], null, s21, v15, v[0:1]
	v_mad_u64_u32 v[48:49], null, s20, v12, 0
	v_lshlrev_b64 v[21:22], 3, v[21:22]
	v_mad_u64_u32 v[50:51], null, s21, v16, v[2:3]
	v_mov_b32_e32 v34, v47
	v_add_co_u32 v60, s0, v58, v21
	v_mov_b32_e32 v2, v49
	v_add_co_ci_u32_e64 v61, s0, v59, v22, s0
	v_add_co_u32 v62, s0, v58, v39
	v_mad_u64_u32 v[21:22], null, s20, v18, 0
	v_add_co_ci_u32_e64 v63, s0, v59, v40, s0
	v_mov_b32_e32 v47, v50
	v_mad_u64_u32 v[39:40], null, s21, v12, v[2:3]
	v_or_b32_e32 v12, 0xd0, v1
	v_mov_b32_e32 v0, v22
	v_lshlrev_b64 v[40:41], 3, v[46:47]
	v_lshlrev_b64 v[33:34], 3, v[33:34]
	v_mad_u64_u32 v[50:51], null, s20, v17, 0
	v_mad_u64_u32 v[46:47], null, s20, v12, 0
	;; [unrolled: 1-line block ×3, first 2 shown]
	v_mov_b32_e32 v49, v39
	v_add_co_u32 v33, s0, v58, v33
	v_add_co_ci_u32_e64 v34, s0, v59, v34, s0
	v_mov_b32_e32 v0, v47
	v_add_co_u32 v64, s0, v58, v40
	v_lshlrev_b64 v[39:40], 3, v[48:49]
	v_or_b32_e32 v23, 0x130, v1
	v_mad_u64_u32 v[47:48], null, s21, v12, v[0:1]
	v_or_b32_e32 v12, 0x110, v1
	v_mov_b32_e32 v2, v51
	v_mad_u64_u32 v[54:55], null, s20, v23, 0
	v_lshlrev_b64 v[21:22], 3, v[21:22]
	v_mad_u64_u32 v[52:53], null, s20, v12, 0
	v_mad_u64_u32 v[48:49], null, s21, v17, v[2:3]
	v_add_co_ci_u32_e64 v65, s0, v59, v41, s0
	v_add_co_u32 v66, s0, v58, v21
	v_mov_b32_e32 v0, v53
	v_mov_b32_e32 v2, v55
	v_add_co_ci_u32_e64 v67, s0, v59, v22, s0
	v_lshlrev_b64 v[21:22], 3, v[46:47]
	v_mad_u64_u32 v[46:47], null, s21, v12, v[0:1]
	v_mov_b32_e32 v51, v48
	v_mad_u64_u32 v[47:48], null, s21, v23, v[2:3]
	v_add_co_u32 v68, s0, v58, v39
	v_add_co_ci_u32_e64 v69, s0, v59, v40, s0
	v_lshlrev_b64 v[39:40], 3, v[50:51]
	v_mov_b32_e32 v53, v46
	v_add_co_u32 v70, s0, v58, v21
	v_mov_b32_e32 v55, v47
	v_add_co_ci_u32_e64 v71, s0, v59, v22, s0
	v_lshlrev_b64 v[21:22], 3, v[52:53]
	v_add_co_u32 v72, s0, v58, v39
	v_add_co_ci_u32_e64 v73, s0, v59, v40, s0
	v_lshlrev_b64 v[39:40], 3, v[54:55]
	v_add_co_u32 v74, s0, v58, v21
	v_add_co_ci_u32_e64 v75, s0, v59, v22, s0
	v_add_co_u32 v76, s0, v58, v39
	v_add_co_ci_u32_e64 v77, s0, v59, v40, s0
	s_clause 0x13
	global_load_dwordx2 v[22:23], v[27:28], off
	global_load_dwordx2 v[40:41], v[29:30], off
	;; [unrolled: 1-line block ×20, first 2 shown]
.LBB0_13:
	s_or_b32 exec_lo, exec_lo, s1
	s_waitcnt vmcnt(13)
	v_add_f32_e32 v0, v50, v48
	s_waitcnt vmcnt(11)
	v_add_f32_e32 v2, v46, v42
	v_add_f32_e32 v62, v22, v46
	v_sub_f32_e32 v66, v51, v49
	v_sub_f32_e32 v12, v46, v50
	v_fma_f32 v61, -0.5, v0, v22
	v_fmac_f32_e32 v22, -0.5, v2
	v_sub_f32_e32 v0, v50, v46
	v_sub_f32_e32 v2, v48, v42
	;; [unrolled: 1-line block ×4, first 2 shown]
	v_fmamk_f32 v67, v66, 0x3f737871, v22
	v_sub_f32_e32 v19, v58, v52
	v_add_f32_e32 v0, v0, v2
	v_fmac_f32_e32 v22, 0xbf737871, v66
	v_add_f32_e32 v2, v52, v54
	s_waitcnt vmcnt(10)
	v_add_f32_e32 v60, v44, v58
	v_add_f32_e32 v68, v12, v17
	v_sub_f32_e32 v17, v44, v54
	v_fmac_f32_e32 v67, 0xbf167918, v65
	v_fmac_f32_e32 v22, 0x3f167918, v65
	v_fma_f32 v12, -0.5, v2, v40
	v_add_f32_e32 v2, v40, v58
	v_fmac_f32_e32 v40, -0.5, v60
	v_sub_f32_e32 v69, v53, v55
	v_sub_f32_e32 v60, v52, v58
	;; [unrolled: 1-line block ×3, first 2 shown]
	v_add_f32_e32 v70, v17, v19
	v_add_f32_e32 v17, v53, v55
	;; [unrolled: 1-line block ×3, first 2 shown]
	v_fmac_f32_e32 v67, 0x3e9e377a, v0
	v_fmac_f32_e32 v22, 0x3e9e377a, v0
	v_fmamk_f32 v0, v69, 0x3f737871, v40
	v_sub_f32_e32 v71, v59, v45
	v_add_f32_e32 v63, v63, v60
	v_fmac_f32_e32 v40, 0xbf737871, v69
	v_fma_f32 v17, -0.5, v17, v41
	v_add_f32_e32 v60, v41, v59
	v_fmac_f32_e32 v41, -0.5, v19
	v_sub_f32_e32 v72, v52, v54
	v_sub_f32_e32 v64, v58, v44
	;; [unrolled: 1-line block ×4, first 2 shown]
	v_fmac_f32_e32 v0, 0xbf167918, v71
	v_fmac_f32_e32 v40, 0x3f167918, v71
	v_fmamk_f32 v19, v72, 0xbf737871, v41
	v_sub_f32_e32 v59, v59, v53
	v_fmac_f32_e32 v41, 0x3f737871, v72
	v_sub_f32_e32 v74, v45, v55
	v_add_f32_e32 v73, v73, v58
	v_fmamk_f32 v58, v64, 0x3f737871, v17
	v_fmac_f32_e32 v19, 0x3f167918, v64
	v_fmac_f32_e32 v0, 0x3e9e377a, v63
	;; [unrolled: 1-line block ×4, first 2 shown]
	v_add_f32_e32 v59, v74, v59
	v_mul_u32_u24_e32 v63, 0x140, v10
	v_fmamk_f32 v10, v71, 0xbf737871, v12
	v_fmac_f32_e32 v58, 0x3f167918, v72
	v_add_f32_e32 v2, v52, v2
	v_fmac_f32_e32 v19, 0x3e9e377a, v73
	v_fmac_f32_e32 v41, 0x3e9e377a, v73
	v_add_f32_e32 v62, v62, v50
	v_fmamk_f32 v73, v65, 0xbf737871, v61
	v_fmac_f32_e32 v10, 0xbf167918, v69
	v_fmac_f32_e32 v58, 0x3e9e377a, v59
	v_add_f32_e32 v2, v54, v2
	v_fmac_f32_e32 v17, 0xbf737871, v64
	v_add_f32_e32 v52, v62, v48
	v_fmac_f32_e32 v73, 0xbf167918, v66
	v_fmac_f32_e32 v10, 0x3e9e377a, v70
	v_mul_f32_e32 v54, 0xbf167918, v58
	v_mul_f32_e32 v74, 0xbf737871, v19
	;; [unrolled: 1-line block ×3, first 2 shown]
	v_add_f32_e32 v44, v44, v2
	v_lshlrev_b32_e32 v2, 2, v63
	v_fmac_f32_e32 v12, 0x3f737871, v71
	v_fmac_f32_e32 v17, 0xbf167918, v72
	v_add_f32_e32 v52, v52, v42
	v_fmac_f32_e32 v73, 0x3e9e377a, v68
	v_fmac_f32_e32 v54, 0x3f4f1bbd, v10
	;; [unrolled: 1-line block ×4, first 2 shown]
	v_mul_u32_u24_e32 v71, 10, v1
	v_add_nc_u32_e32 v72, 0, v2
	v_fmac_f32_e32 v61, 0x3f737871, v65
	v_fmac_f32_e32 v12, 0x3f167918, v69
	;; [unrolled: 1-line block ×3, first 2 shown]
	v_add_f32_e32 v62, v52, v44
	v_add_f32_e32 v63, v73, v54
	;; [unrolled: 1-line block ×4, first 2 shown]
	v_lshl_add_u32 v69, v71, 2, v72
	v_fmac_f32_e32 v61, 0x3f167918, v66
	v_fmac_f32_e32 v12, 0x3e9e377a, v70
	v_mul_f32_e32 v59, 0xbf167918, v17
	s_waitcnt vmcnt(1)
	v_add_f32_e32 v66, v28, v30
	ds_write2_b64 v69, v[62:63], v[64:65] offset1:1
	v_sub_f32_e32 v62, v73, v54
	v_fmac_f32_e32 v61, 0x3e9e377a, v68
	v_fmac_f32_e32 v59, 0xbf4f1bbd, v12
	v_add_f32_e32 v54, v34, v26
	v_sub_f32_e32 v63, v67, v74
	v_sub_f32_e32 v65, v52, v44
	v_add_f32_e32 v52, v20, v28
	v_add_f32_e32 v64, v61, v59
	v_fma_f32 v44, -0.5, v54, v20
	v_fmac_f32_e32 v20, -0.5, v66
	v_sub_f32_e32 v54, v35, v27
	s_waitcnt vmcnt(0)
	v_sub_f32_e32 v71, v36, v32
	ds_write2_b64 v69, v[64:65], v[62:63] offset0:2 offset1:3
	v_sub_f32_e32 v62, v61, v59
	v_sub_f32_e32 v59, v34, v28
	;; [unrolled: 1-line block ×3, first 2 shown]
	v_fmamk_f32 v66, v54, 0x3f737871, v20
	v_sub_f32_e32 v63, v29, v31
	v_fmac_f32_e32 v20, 0xbf737871, v54
	v_sub_f32_e32 v64, v28, v34
	v_add_f32_e32 v59, v59, v61
	v_sub_f32_e32 v65, v30, v26
	v_fmac_f32_e32 v66, 0xbf167918, v63
	v_fmac_f32_e32 v20, 0x3f167918, v63
	v_add_f32_e32 v74, v37, v39
	v_sub_f32_e32 v61, v22, v75
	v_add_f32_e32 v22, v64, v65
	v_fmac_f32_e32 v66, 0x3e9e377a, v59
	v_fmac_f32_e32 v20, 0x3e9e377a, v59
	v_sub_f32_e32 v59, v38, v56
	v_add_f32_e32 v64, v36, v38
	v_add_f32_e32 v65, v56, v32
	v_fma_f32 v74, -0.5, v74, v25
	v_add_f32_e32 v75, v57, v25
	v_add_f32_e32 v59, v71, v59
	;; [unrolled: 1-line block ×3, first 2 shown]
	v_sub_f32_e32 v67, v56, v38
	v_sub_f32_e32 v68, v32, v36
	v_fma_f32 v70, -0.5, v64, v24
	v_add_f32_e32 v64, v56, v24
	v_fmac_f32_e32 v25, -0.5, v71
	v_sub_f32_e32 v71, v38, v36
	v_fmac_f32_e32 v24, -0.5, v65
	v_sub_f32_e32 v65, v39, v37
	v_sub_f32_e32 v56, v56, v32
	;; [unrolled: 1-line block ×4, first 2 shown]
	v_fmamk_f32 v78, v71, 0xbf737871, v25
	v_fmac_f32_e32 v25, 0x3f737871, v71
	v_add_f32_e32 v67, v68, v67
	v_fmamk_f32 v73, v65, 0x3f737871, v24
	v_sub_f32_e32 v68, v57, v33
	v_fmac_f32_e32 v24, 0xbf737871, v65
	v_sub_f32_e32 v57, v57, v39
	v_sub_f32_e32 v79, v33, v37
	v_add_f32_e32 v76, v77, v76
	v_fmac_f32_e32 v78, 0x3f167918, v56
	v_fmac_f32_e32 v25, 0xbf167918, v56
	v_fmamk_f32 v77, v56, 0x3f737871, v74
	v_fmac_f32_e32 v74, 0xbf737871, v56
	v_add_f32_e32 v38, v38, v64
	v_fmac_f32_e32 v73, 0xbf167918, v68
	v_fmac_f32_e32 v24, 0x3f167918, v68
	v_add_f32_e32 v57, v79, v57
	v_fmac_f32_e32 v78, 0x3e9e377a, v76
	v_fmac_f32_e32 v25, 0x3e9e377a, v76
	v_add_f32_e32 v52, v52, v34
	v_fmamk_f32 v76, v68, 0xbf737871, v70
	v_fmac_f32_e32 v77, 0x3f167918, v71
	v_fmac_f32_e32 v70, 0x3f737871, v68
	;; [unrolled: 1-line block ×3, first 2 shown]
	v_add_f32_e32 v36, v36, v38
	v_fmac_f32_e32 v73, 0x3e9e377a, v59
	v_fmac_f32_e32 v24, 0x3e9e377a, v59
	v_fmamk_f32 v59, v63, 0xbf737871, v44
	v_add_f32_e32 v52, v52, v26
	v_fmac_f32_e32 v76, 0xbf167918, v65
	v_fmac_f32_e32 v77, 0x3e9e377a, v57
	;; [unrolled: 1-line block ×5, first 2 shown]
	v_add_f32_e32 v32, v32, v36
	v_mul_f32_e32 v36, 0xbf737871, v78
	v_fmac_f32_e32 v59, 0xbf167918, v54
	v_add_f32_e32 v38, v52, v30
	v_fmac_f32_e32 v76, 0x3e9e377a, v67
	v_mul_f32_e32 v52, 0xbf167918, v77
	v_mul_f32_e32 v79, 0xbf737871, v25
	v_fmac_f32_e32 v44, 0x3f167918, v54
	v_fmac_f32_e32 v70, 0x3e9e377a, v67
	v_mul_f32_e32 v54, 0xbf167918, v74
	v_fmac_f32_e32 v36, 0x3e9e377a, v73
	v_fmac_f32_e32 v59, 0x3e9e377a, v22
	;; [unrolled: 1-line block ×4, first 2 shown]
	v_mul_i32_i24_e32 v65, 10, v13
	v_fmac_f32_e32 v44, 0x3e9e377a, v22
	v_fmac_f32_e32 v54, 0xbf4f1bbd, v70
	v_add_f32_e32 v56, v38, v32
	v_add_f32_e32 v63, v66, v36
	v_sub_f32_e32 v66, v66, v36
	v_sub_f32_e32 v68, v38, v32
	v_add_f32_e32 v22, v53, v60
	v_add_f32_e32 v32, v23, v47
	;; [unrolled: 1-line block ×3, first 2 shown]
	v_sub_f32_e32 v60, v46, v42
	v_add_f32_e32 v46, v47, v43
	v_add_f32_e32 v57, v59, v52
	;; [unrolled: 1-line block ×3, first 2 shown]
	v_lshl_add_u32 v71, v65, 2, v72
	v_sub_f32_e32 v65, v59, v52
	v_add_f32_e32 v67, v44, v54
	ds_write_b64 v69, v[61:62] offset:32
	ds_write2_b64 v71, v[56:57], v[63:64] offset1:1
	ds_write2_b64 v71, v[67:68], v[65:66] offset0:2 offset1:3
	v_add_f32_e32 v32, v32, v51
	v_sub_f32_e32 v59, v50, v48
	v_fma_f32 v66, -0.5, v36, v23
	v_fmac_f32_e32 v23, -0.5, v46
	v_sub_f32_e32 v38, v47, v51
	v_sub_f32_e32 v48, v51, v47
	v_add_f32_e32 v32, v32, v49
	v_sub_f32_e32 v47, v43, v49
	v_sub_f32_e32 v49, v49, v43
	v_mul_f32_e32 v65, 0xbe9e377a, v41
	v_sub_f32_e32 v41, v20, v79
	v_fmamk_f32 v79, v59, 0xbf737871, v23
	v_fmamk_f32 v81, v60, 0x3f737871, v66
	v_fmac_f32_e32 v23, 0x3f737871, v59
	v_add_f32_e32 v22, v55, v22
	v_add_f32_e32 v80, v38, v47
	;; [unrolled: 1-line block ×3, first 2 shown]
	v_fmac_f32_e32 v79, 0x3f167918, v60
	v_mul_f32_e32 v82, 0x3f4f1bbd, v58
	v_fmac_f32_e32 v81, 0x3f167918, v59
	v_mul_f32_e32 v83, 0x3f737871, v0
	v_fmac_f32_e32 v23, 0xbf167918, v60
	v_add_f32_e32 v67, v32, v43
	v_add_f32_e32 v68, v45, v22
	v_fmac_f32_e32 v65, 0x3f737871, v40
	v_fmac_f32_e32 v79, 0x3e9e377a, v20
	;; [unrolled: 1-line block ×6, first 2 shown]
	v_lshlrev_b32_e32 v10, 2, v1
	v_fmac_f32_e32 v66, 0xbf737871, v60
	v_sub_f32_e32 v42, v44, v54
	v_add_f32_e32 v19, v67, v68
	v_add_f32_e32 v20, v81, v82
	;; [unrolled: 1-line block ×4, first 2 shown]
	v_add_nc_u32_e32 v0, v72, v10
	v_add3_u32 v46, 0, v10, v2
	v_fmac_f32_e32 v66, 0xbf167918, v59
	v_mul_f32_e32 v17, 0xbf4f1bbd, v17
	v_lshl_add_u32 v36, v15, 2, v72
	v_mad_i32_i24 v51, 0xffffffdc, v13, v71
	v_lshl_add_u32 v38, v9, 2, v72
	v_lshl_add_u32 v47, v7, 2, v72
	ds_write_b64 v71, v[41:42] offset:32
	s_load_dwordx2 s[4:5], s[4:5], 0x0
	s_waitcnt lgkmcnt(0)
	s_barrier
	buffer_gl0_inv
	v_lshl_add_u32 v48, v16, 2, v72
	v_lshl_add_u32 v49, v14, 2, v72
	;; [unrolled: 1-line block ×5, first 2 shown]
	v_add_nc_u32_e32 v54, 0x400, v46
	ds_read_b32 v56, v0
	ds_read_b32 v72, v36
	;; [unrolled: 1-line block ×10, first 2 shown]
	ds_read2_b32 v[61:62], v46 offset0:160 offset1:176
	ds_read2_b32 v[44:45], v46 offset0:224 offset1:240
	ds_read2_b32 v[42:43], v54 offset1:16
	ds_read2_b32 v[63:64], v46 offset0:192 offset1:208
	ds_read2_b32 v[40:41], v54 offset0:32 offset1:48
	s_waitcnt lgkmcnt(0)
	s_barrier
	buffer_gl0_inv
	ds_write2_b64 v69, v[19:20], v[57:58] offset1:1
	v_fmac_f32_e32 v66, 0x3e9e377a, v80
	v_fmac_f32_e32 v17, 0x3f167918, v12
	v_add_f32_e32 v19, v21, v29
	v_add_f32_e32 v12, v39, v75
	v_sub_f32_e32 v65, v23, v65
	v_sub_f32_e32 v20, v34, v26
	v_add_f32_e32 v59, v66, v17
	v_sub_f32_e32 v66, v66, v17
	v_add_f32_e32 v17, v19, v35
	v_add_f32_e32 v19, v35, v27
	v_sub_f32_e32 v23, v29, v35
	v_sub_f32_e32 v26, v35, v29
	v_add_f32_e32 v29, v29, v31
	v_add_f32_e32 v12, v37, v12
	v_fma_f32 v37, -0.5, v19, v21
	v_sub_f32_e32 v28, v28, v30
	v_sub_f32_e32 v19, v27, v31
	v_fmac_f32_e32 v21, -0.5, v29
	v_cmp_gt_u32_e64 s0, 10, v1
	v_add_f32_e32 v17, v17, v27
	v_sub_f32_e32 v30, v31, v27
	v_add_f32_e32 v19, v26, v19
	v_fmamk_f32 v29, v20, 0xbf737871, v21
	v_fmac_f32_e32 v21, 0x3f737871, v20
	v_fmamk_f32 v27, v28, 0x3f737871, v37
	v_fmac_f32_e32 v37, 0xbf737871, v28
	v_add_f32_e32 v12, v33, v12
	v_fmac_f32_e32 v29, 0x3f167918, v28
	v_fmac_f32_e32 v21, 0xbf167918, v28
	v_mul_f32_e32 v33, 0x3f737871, v73
	v_mul_f32_e32 v35, 0xbe9e377a, v25
	v_add_f32_e32 v17, v17, v31
	v_fmac_f32_e32 v29, 0x3e9e377a, v19
	v_fmac_f32_e32 v21, 0x3e9e377a, v19
	v_add_nc_u32_e32 v19, -10, v1
	v_add_f32_e32 v30, v23, v30
	v_mul_f32_e32 v31, 0x3f167918, v76
	v_fmac_f32_e32 v27, 0x3f167918, v20
	v_fmac_f32_e32 v37, 0xbf167918, v20
	v_cndmask_b32_e64 v73, v19, v1, s0
	v_mul_f32_e32 v39, 0xbf4f1bbd, v74
	v_fmac_f32_e32 v33, 0x3e9e377a, v78
	v_mov_b32_e32 v20, 0
	v_fmac_f32_e32 v35, 0x3f737871, v24
	v_mul_i32_i24_e32 v19, 3, v73
	v_fmac_f32_e32 v31, 0x3f4f1bbd, v77
	v_fmac_f32_e32 v27, 0x3e9e377a, v30
	;; [unrolled: 1-line block ×4, first 2 shown]
	v_add_f32_e32 v25, v29, v33
	v_sub_f32_e32 v28, v29, v33
	v_lshlrev_b64 v[33:34], 3, v[19:20]
	v_sub_f32_e32 v57, v81, v82
	v_sub_f32_e32 v58, v79, v83
	;; [unrolled: 1-line block ×3, first 2 shown]
	v_add_f32_e32 v23, v17, v12
	v_add_f32_e32 v24, v27, v31
	;; [unrolled: 1-line block ×3, first 2 shown]
	v_sub_f32_e32 v27, v27, v31
	v_sub_f32_e32 v30, v17, v12
	v_add_f32_e32 v29, v37, v39
	v_add_co_u32 v33, s0, s12, v33
	ds_write2_b64 v69, v[59:60], v[57:58] offset0:2 offset1:3
	ds_write_b64 v69, v[65:66] offset:32
	ds_write2_b64 v71, v[23:24], v[25:26] offset1:1
	ds_write2_b64 v71, v[29:30], v[27:28] offset0:2 offset1:3
	v_sub_f32_e32 v23, v21, v35
	v_sub_f32_e32 v24, v37, v39
	v_add_co_ci_u32_e64 v34, s0, s13, v34, s0
	v_and_b32_e32 v12, 0xff, v13
	v_mov_b32_e32 v19, 3
	ds_write_b64 v71, v[23:24] offset:32
	s_waitcnt lgkmcnt(0)
	s_barrier
	buffer_gl0_inv
	global_load_dwordx4 v[23:26], v[33:34], off
	v_mul_lo_u16 v12, 0xcd, v12
	v_and_b32_e32 v31, 0xff, v7
	v_and_b32_e32 v37, 0xff, v14
	ds_read_b32 v67, v36
	ds_read2_b32 v[65:66], v46 offset0:160 offset1:176
	v_lshrrev_b16 v12, 11, v12
	v_mul_lo_u16 v31, 0xcd, v31
	v_mul_lo_u16 v37, 0xcd, v37
	v_and_b32_e32 v80, 0xff, v8
	v_cmp_lt_u32_e64 s0, 9, v1
	v_mul_lo_u16 v17, v12, 10
	v_lshrrev_b16 v31, 11, v31
	v_lshrrev_b16 v37, 11, v37
	v_and_b32_e32 v12, 0xffff, v12
	v_sub_nc_u16 v17, v13, v17
	v_mul_lo_u16 v35, v31, 10
	v_mul_lo_u16 v68, v37, 10
	v_mad_u32_u24 v12, 0xa0, v12, 0
	v_mul_u32_u24_sdwa v21, v17, v19 dst_sel:DWORD dst_unused:UNUSED_PAD src0_sel:BYTE_0 src1_sel:DWORD
	v_sub_nc_u16 v35, v7, v35
	v_sub_nc_u16 v69, v14, v68
	v_lshlrev_b32_e32 v21, 3, v21
	v_mul_u32_u24_sdwa v39, v35, v19 dst_sel:DWORD dst_unused:UNUSED_PAD src0_sel:BYTE_0 src1_sel:DWORD
	v_mul_u32_u24_sdwa v68, v69, v19 dst_sel:DWORD dst_unused:UNUSED_PAD src0_sel:BYTE_0 src1_sel:DWORD
	global_load_dwordx4 v[27:30], v21, s[12:13]
	v_lshlrev_b32_e32 v39, 3, v39
	v_lshlrev_b32_e32 v78, 3, v68
	s_clause 0x1
	global_load_dwordx4 v[57:60], v39, s[12:13]
	global_load_dwordx2 v[33:34], v[33:34], off offset:16
	ds_read_b32 v70, v49
	ds_read_b32 v71, v47
	;; [unrolled: 1-line block ×4, first 2 shown]
	s_waitcnt vmcnt(3) lgkmcnt(5)
	v_mul_f32_e32 v76, v67, v24
	v_mul_f32_e32 v24, v72, v24
	s_waitcnt lgkmcnt(4)
	v_mul_f32_e32 v77, v65, v26
	v_mul_f32_e32 v26, v61, v26
	v_fmac_f32_e32 v76, v72, v23
	v_fma_f32 v72, v67, v23, -v24
	v_fmac_f32_e32 v77, v61, v25
	v_fma_f32 v61, v65, v25, -v26
	global_load_dwordx4 v[23:26], v78, s[12:13]
	ds_read_b32 v65, v38
	global_load_dwordx2 v[67:68], v21, s[12:13] offset:16
	s_waitcnt vmcnt(4)
	v_mul_f32_e32 v21, v66, v30
	v_mul_f32_e32 v30, v62, v30
	s_waitcnt lgkmcnt(0)
	v_mul_f32_e32 v79, v65, v28
	v_mul_f32_e32 v28, v84, v28
	v_fmac_f32_e32 v21, v62, v29
	ds_read_b32 v62, v48
	v_fmac_f32_e32 v79, v84, v27
	v_fma_f32 v65, v65, v27, -v28
	ds_read2_b32 v[27:28], v46 offset0:192 offset1:208
	v_fma_f32 v66, v66, v29, -v30
	global_load_dwordx2 v[29:30], v39, s[12:13] offset:16
	v_sub_f32_e32 v21, v55, v21
	s_waitcnt vmcnt(4) lgkmcnt(1)
	v_mul_f32_e32 v39, v62, v58
	v_mul_f32_e32 v58, v85, v58
	v_fmac_f32_e32 v39, v85, v57
	v_fma_f32 v81, v62, v57, -v58
	s_waitcnt lgkmcnt(0)
	v_mul_f32_e32 v62, v27, v60
	v_mul_f32_e32 v57, v63, v60
	v_mul_lo_u16 v58, 0xcd, v80
	v_fmac_f32_e32 v62, v63, v59
	v_fma_f32 v80, v27, v59, -v57
	ds_read_b32 v27, v50
	v_lshrrev_b16 v59, 11, v58
	global_load_dwordx2 v[57:58], v78, s[12:13] offset:16
	v_mul_lo_u16 v60, v59, 10
	v_sub_nc_u16 v60, v8, v60
	v_mul_u32_u24_sdwa v19, v60, v19 dst_sel:DWORD dst_unused:UNUSED_PAD src0_sel:BYTE_0 src1_sel:DWORD
	v_lshlrev_b32_e32 v19, 3, v19
	s_waitcnt vmcnt(3)
	v_mul_f32_e32 v63, v28, v26
	v_mul_f32_e32 v26, v64, v26
	v_fmac_f32_e32 v63, v64, v25
	s_waitcnt lgkmcnt(0)
	v_mul_f32_e32 v64, v27, v24
	v_mul_f32_e32 v24, v86, v24
	v_fma_f32 v78, v28, v25, -v26
	v_fmac_f32_e32 v64, v86, v23
	v_fma_f32 v82, v27, v23, -v24
	s_clause 0x1
	global_load_dwordx4 v[23:26], v19, s[12:13]
	global_load_dwordx2 v[27:28], v19, s[12:13] offset:16
	ds_read_b32 v19, v53
	ds_read_b32 v83, v52
	s_waitcnt vmcnt(1) lgkmcnt(1)
	v_mul_f32_e32 v84, v19, v24
	v_mul_f32_e32 v24, v87, v24
	v_fmac_f32_e32 v84, v87, v23
	v_fma_f32 v19, v19, v23, -v24
	ds_read2_b32 v[23:24], v46 offset0:224 offset1:240
	s_waitcnt lgkmcnt(0)
	v_mul_f32_e32 v85, v23, v26
	v_mul_f32_e32 v26, v44, v26
	v_fmac_f32_e32 v85, v44, v25
	v_fma_f32 v86, v23, v25, -v26
	v_mul_f32_e32 v44, v24, v34
	v_mul_f32_e32 v23, v45, v34
	;; [unrolled: 1-line block ×3, first 2 shown]
	v_fmac_f32_e32 v44, v45, v33
	v_fma_f32 v33, v24, v33, -v23
	ds_read2_b32 v[23:24], v54 offset1:16
	v_sub_f32_e32 v33, v72, v33
	s_waitcnt lgkmcnt(0)
	v_mul_f32_e32 v34, v23, v68
	v_fma_f32 v23, v23, v67, -v25
	ds_read2_b32 v[25:26], v54 offset0:32 offset1:48
	s_waitcnt vmcnt(0) lgkmcnt(0)
	s_barrier
	v_fmac_f32_e32 v34, v42, v67
	v_mul_f32_e32 v42, v24, v30
	v_mul_f32_e32 v30, v43, v30
	buffer_gl0_inv
	v_sub_f32_e32 v23, v65, v23
	v_fmac_f32_e32 v42, v43, v29
	v_fma_f32 v24, v24, v29, -v30
	v_mul_f32_e32 v30, v40, v58
	v_sub_f32_e32 v42, v39, v42
	v_sub_f32_e32 v24, v81, v24
	v_fma_f32 v39, v39, 2.0, -v42
	v_mul_f32_e32 v29, v25, v58
	v_fma_f32 v25, v25, v57, -v30
	v_sub_f32_e32 v30, v56, v77
	v_mul_f32_e32 v43, v26, v28
	v_mul_f32_e32 v28, v41, v28
	v_fmac_f32_e32 v29, v40, v57
	v_sub_f32_e32 v40, v76, v44
	v_cndmask_b32_e64 v44, 0, 0xa0, s0
	v_fma_f32 v45, v56, 2.0, -v30
	v_lshlrev_b32_e32 v57, 2, v73
	v_add_f32_e32 v58, v30, v33
	v_fma_f32 v56, v76, 2.0, -v40
	v_add_nc_u32_e32 v44, 0, v44
	v_fmac_f32_e32 v43, v41, v27
	v_sub_f32_e32 v41, v79, v34
	v_fma_f32 v26, v26, v27, -v28
	v_sub_f32_e32 v56, v45, v56
	v_add3_u32 v27, v44, v57, v2
	v_fma_f32 v30, v30, 2.0, -v58
	v_mov_b32_e32 v34, 2
	v_fma_f32 v44, v55, 2.0, -v21
	v_fma_f32 v28, v45, 2.0, -v56
	;; [unrolled: 1-line block ×3, first 2 shown]
	ds_write2_b32 v27, v56, v58 offset0:20 offset1:30
	v_lshlrev_b32_sdwa v17, v34, v17 dst_sel:DWORD dst_unused:UNUSED_PAD src0_sel:DWORD src1_sel:BYTE_0
	v_lshlrev_b32_sdwa v35, v34, v35 dst_sel:DWORD dst_unused:UNUSED_PAD src0_sel:DWORD src1_sel:BYTE_0
	ds_write2_b32 v27, v28, v30 offset1:10
	v_sub_f32_e32 v28, v44, v45
	v_and_b32_e32 v30, 0xffff, v31
	v_add3_u32 v12, v12, v17, v2
	v_add_f32_e32 v17, v21, v23
	v_sub_f32_e32 v29, v64, v29
	v_fma_f32 v31, v44, 2.0, -v28
	v_sub_f32_e32 v44, v32, v62
	v_mad_u32_u24 v30, 0xa0, v30, 0
	v_fma_f32 v21, v21, 2.0, -v17
	ds_write2_b32 v12, v31, v21 offset1:10
	ds_write2_b32 v12, v28, v17 offset0:20 offset1:30
	v_fma_f32 v32, v32, 2.0, -v44
	v_add_f32_e32 v28, v44, v24
	v_add3_u32 v17, v30, v35, v2
	v_and_b32_e32 v30, 0xffff, v37
	v_sub_f32_e32 v31, v22, v63
	v_sub_f32_e32 v21, v32, v39
	v_fma_f32 v35, v44, 2.0, -v28
	v_fma_f32 v37, v64, 2.0, -v29
	v_mad_u32_u24 v30, 0xa0, v30, 0
	v_fma_f32 v22, v22, 2.0, -v31
	v_fma_f32 v32, v32, 2.0, -v21
	v_lshlrev_b32_sdwa v39, v34, v69 dst_sel:DWORD dst_unused:UNUSED_PAD src0_sel:DWORD src1_sel:BYTE_0
	ds_write2_b32 v17, v32, v35 offset1:10
	ds_write2_b32 v17, v21, v28 offset0:20 offset1:30
	v_sub_f32_e32 v32, v10, v85
	v_sub_f32_e32 v35, v84, v43
	;; [unrolled: 1-line block ×4, first 2 shown]
	v_add3_u32 v30, v30, v39, v2
	v_and_b32_e32 v37, 0xffff, v59
	v_fma_f32 v10, v10, 2.0, -v32
	v_fma_f32 v39, v84, 2.0, -v35
	v_sub_f32_e32 v26, v19, v26
	v_add_f32_e32 v28, v31, v25
	v_lshlrev_b32_sdwa v34, v34, v60 dst_sel:DWORD dst_unused:UNUSED_PAD src0_sel:DWORD src1_sel:BYTE_0
	v_mad_u32_u24 v37, 0xa0, v37, 0
	v_sub_f32_e32 v39, v10, v39
	v_add_f32_e32 v44, v32, v26
	v_fma_f32 v22, v22, 2.0, -v21
	v_fma_f32 v31, v31, 2.0, -v28
	v_add3_u32 v37, v37, v34, v2
	v_fma_f32 v10, v10, 2.0, -v39
	v_fma_f32 v32, v32, 2.0, -v44
	v_sub_f32_e32 v43, v75, v61
	ds_write2_b32 v30, v22, v31 offset1:10
	ds_write2_b32 v30, v21, v28 offset0:20 offset1:30
	ds_write2_b32 v37, v10, v32 offset1:10
	ds_write2_b32 v37, v39, v44 offset0:20 offset1:30
	v_sub_f32_e32 v28, v74, v66
	v_fma_f32 v33, v72, 2.0, -v33
	v_fma_f32 v45, v75, 2.0, -v43
	;; [unrolled: 1-line block ×3, first 2 shown]
	v_sub_f32_e32 v31, v43, v40
	v_fma_f32 v32, v74, 2.0, -v28
	v_sub_f32_e32 v39, v28, v41
	v_sub_f32_e32 v22, v45, v33
	;; [unrolled: 1-line block ×3, first 2 shown]
	v_fma_f32 v21, v43, 2.0, -v31
	v_sub_f32_e32 v23, v32, v23
	v_fma_f32 v28, v28, 2.0, -v39
	v_fma_f32 v10, v45, 2.0, -v22
	s_waitcnt lgkmcnt(0)
	s_barrier
	v_fma_f32 v32, v32, 2.0, -v23
	buffer_gl0_inv
	ds_read_b32 v45, v0
	ds_read_b32 v73, v36
	;; [unrolled: 1-line block ×10, first 2 shown]
	ds_read2_b32 v[33:34], v46 offset0:160 offset1:176
	ds_read2_b32 v[43:44], v46 offset0:224 offset1:240
	ds_read2_b32 v[59:60], v54 offset1:16
	ds_read2_b32 v[61:62], v46 offset0:192 offset1:208
	ds_read2_b32 v[63:64], v54 offset0:32 offset1:48
	s_waitcnt lgkmcnt(0)
	s_barrier
	buffer_gl0_inv
	ds_write2_b32 v27, v10, v21 offset1:10
	v_fma_f32 v10, v81, 2.0, -v24
	v_fma_f32 v21, v71, 2.0, -v40
	ds_write2_b32 v27, v22, v31 offset0:20 offset1:30
	ds_write2_b32 v12, v32, v28 offset1:10
	ds_write2_b32 v12, v23, v39 offset0:20 offset1:30
	v_sub_f32_e32 v12, v70, v78
	v_sub_f32_e32 v22, v83, v86
	;; [unrolled: 1-line block ×4, first 2 shown]
	v_fma_f32 v24, v82, 2.0, -v25
	v_fma_f32 v25, v70, 2.0, -v12
	;; [unrolled: 1-line block ×6, first 2 shown]
	v_sub_f32_e32 v24, v25, v24
	v_sub_f32_e32 v28, v12, v29
	v_sub_f32_e32 v19, v26, v19
	v_sub_f32_e32 v29, v22, v35
	ds_write2_b32 v17, v21, v27 offset1:10
	v_fma_f32 v21, v25, 2.0, -v24
	v_fma_f32 v12, v12, 2.0, -v28
	;; [unrolled: 1-line block ×3, first 2 shown]
	v_mul_u32_u24_e32 v26, 3, v1
	v_fma_f32 v22, v22, 2.0, -v29
	ds_write2_b32 v17, v10, v23 offset0:20 offset1:30
	ds_write2_b32 v30, v21, v12 offset1:10
	ds_write2_b32 v30, v24, v28 offset0:20 offset1:30
	ds_write2_b32 v37, v25, v22 offset1:10
	ds_write2_b32 v37, v19, v29 offset0:20 offset1:30
	v_lshlrev_b32_e32 v10, 3, v26
	s_waitcnt lgkmcnt(0)
	s_barrier
	buffer_gl0_inv
	v_mul_i32_i24_e32 v19, 3, v13
	global_load_dwordx4 v[21:24], v10, s[12:13] offset:240
	v_add_nc_u32_e32 v12, -8, v1
	v_lshlrev_b64 v[25:26], 3, v[19:20]
	v_add_co_u32 v65, s0, s12, v25
	v_add_co_ci_u32_e64 v66, s0, s13, v26, s0
	v_cmp_gt_u32_e64 s0, 40, v7
	global_load_dwordx4 v[25:28], v[65:66], off offset:240
	v_cndmask_b32_e64 v12, v12, v7, s0
	v_mul_i32_i24_e32 v19, 3, v12
	v_lshlrev_b32_e32 v12, 2, v12
	v_lshlrev_b64 v[29:30], 3, v[19:20]
	v_add_co_u32 v67, s0, s12, v29
	v_add_co_ci_u32_e64 v68, s0, s13, v30, s0
	s_clause 0x1
	global_load_dwordx4 v[29:32], v[67:68], off offset:240
	global_load_dwordx4 v[39:42], v10, s[12:13] offset:432
	ds_read_b32 v17, v36
	ds_read2_b32 v[69:70], v46 offset0:160 offset1:176
	s_clause 0x1
	global_load_dwordx4 v[55:58], v10, s[12:13] offset:816
	global_load_dwordx2 v[71:72], v10, s[12:13] offset:256
	ds_read_b32 v19, v49
	ds_read_b32 v74, v47
	;; [unrolled: 1-line block ×4, first 2 shown]
	global_load_dwordx2 v[65:66], v[65:66], off offset:256
	v_cmp_lt_u32_e64 s0, 39, v7
	s_waitcnt vmcnt(6) lgkmcnt(5)
	v_mul_f32_e32 v37, v17, v22
	v_mul_f32_e32 v22, v73, v22
	v_fmac_f32_e32 v37, v73, v21
	v_fma_f32 v17, v17, v21, -v22
	global_load_dwordx2 v[21:22], v[67:68], off offset:256
	s_waitcnt lgkmcnt(4)
	v_mul_f32_e32 v73, v69, v24
	v_mul_f32_e32 v24, v33, v24
	v_fmac_f32_e32 v73, v33, v23
	v_fma_f32 v33, v69, v23, -v24
	s_clause 0x1
	global_load_dwordx2 v[23:24], v10, s[12:13] offset:448
	global_load_dwordx2 v[67:68], v10, s[12:13] offset:832
	ds_read_b32 v82, v52
	s_waitcnt vmcnt(8)
	v_mul_f32_e32 v10, v70, v28
	v_mul_f32_e32 v28, v34, v28
	v_fmac_f32_e32 v10, v34, v27
	ds_read_b32 v34, v38
	v_fma_f32 v69, v70, v27, -v28
	ds_read_b32 v27, v48
	v_sub_f32_e32 v10, v75, v10
	s_waitcnt vmcnt(7)
	v_mul_f32_e32 v28, v79, v30
	s_waitcnt lgkmcnt(1)
	v_mul_f32_e32 v70, v34, v26
	v_mul_f32_e32 v26, v76, v26
	s_waitcnt lgkmcnt(0)
	v_fma_f32 v80, v27, v29, -v28
	v_fmac_f32_e32 v70, v76, v25
	v_fma_f32 v34, v34, v25, -v26
	ds_read2_b32 v[25:26], v46 offset0:192 offset1:208
	v_mul_f32_e32 v76, v27, v30
	ds_read_b32 v30, v50
	v_mul_f32_e32 v27, v61, v32
	v_fmac_f32_e32 v76, v79, v29
	s_waitcnt vmcnt(6)
	v_mul_f32_e32 v29, v85, v40
	s_waitcnt lgkmcnt(1)
	v_mul_f32_e32 v79, v25, v32
	ds_read_b32 v32, v53
	s_waitcnt lgkmcnt(1)
	v_fma_f32 v81, v30, v39, -v29
	v_fmac_f32_e32 v79, v61, v31
	v_fma_f32 v31, v25, v31, -v27
	v_mul_f32_e32 v61, v26, v42
	ds_read2_b32 v[27:28], v46 offset0:224 offset1:240
	v_mul_f32_e32 v25, v62, v42
	v_mul_f32_e32 v42, v30, v40
	s_waitcnt vmcnt(5)
	v_mul_f32_e32 v40, v88, v56
	v_fmac_f32_e32 v61, v62, v41
	ds_read2_b32 v[29:30], v54 offset0:32 offset1:48
	v_fma_f32 v62, v26, v41, -v25
	ds_read2_b32 v[25:26], v54 offset1:16
	v_fmac_f32_e32 v42, v85, v39
	s_waitcnt vmcnt(0) lgkmcnt(0)
	s_barrier
	buffer_gl0_inv
	v_sub_f32_e32 v31, v74, v31
	v_mul_f32_e32 v39, v32, v56
	v_fma_f32 v32, v32, v55, -v40
	v_mul_f32_e32 v40, v43, v58
	v_sub_f32_e32 v62, v19, v62
	v_fmac_f32_e32 v39, v88, v55
	v_mul_f32_e32 v55, v59, v66
	v_mul_f32_e32 v41, v27, v58
	v_fma_f32 v56, v27, v57, -v40
	v_mul_f32_e32 v27, v28, v72
	v_mul_f32_e32 v40, v44, v72
	v_fma_f32 v19, v19, 2.0, -v62
	v_fmac_f32_e32 v41, v43, v57
	v_sub_f32_e32 v56, v82, v56
	v_fmac_f32_e32 v27, v44, v71
	v_mul_f32_e32 v43, v25, v66
	v_fma_f32 v28, v28, v71, -v40
	v_fma_f32 v25, v25, v65, -v55
	v_fmac_f32_e32 v43, v59, v65
	v_sub_f32_e32 v28, v17, v28
	v_sub_f32_e32 v58, v34, v25
	;; [unrolled: 1-line block ×3, first 2 shown]
	v_fma_f32 v43, v75, 2.0, -v10
	v_add_f32_e32 v25, v10, v58
	v_fma_f32 v17, v17, 2.0, -v28
	v_fma_f32 v34, v34, 2.0, -v58
	;; [unrolled: 1-line block ×3, first 2 shown]
	v_mul_f32_e32 v44, v26, v22
	v_mul_f32_e32 v22, v60, v22
	v_fmac_f32_e32 v44, v60, v21
	v_fma_f32 v21, v26, v21, -v22
	v_sub_f32_e32 v22, v45, v73
	v_sub_f32_e32 v26, v37, v27
	v_mul_f32_e32 v40, v29, v24
	v_mul_f32_e32 v24, v63, v24
	;; [unrolled: 1-line block ×3, first 2 shown]
	v_fma_f32 v45, v45, 2.0, -v22
	v_fma_f32 v37, v37, 2.0, -v26
	v_fmac_f32_e32 v40, v63, v23
	v_fma_f32 v23, v29, v23, -v24
	v_add_f32_e32 v24, v22, v28
	v_sub_f32_e32 v59, v76, v44
	v_sub_f32_e32 v29, v45, v37
	v_mul_f32_e32 v27, v30, v68
	v_cndmask_b32_e64 v44, 0, 0x280, s0
	v_fma_f32 v22, v22, 2.0, -v24
	v_sub_f32_e32 v60, v80, v21
	v_fma_f32 v37, v45, 2.0, -v29
	v_fma_f32 v45, v70, 2.0, -v57
	v_fma_f32 v30, v30, v67, -v55
	v_fma_f32 v55, v76, 2.0, -v59
	v_fmac_f32_e32 v27, v64, v67
	ds_write2_b32 v46, v37, v22 offset1:40
	v_sub_f32_e32 v22, v43, v45
	v_sub_f32_e32 v37, v77, v79
	v_add_nc_u32_e32 v44, 0, v44
	v_sub_f32_e32 v63, v39, v27
	v_sub_f32_e32 v64, v32, v30
	v_fma_f32 v43, v43, 2.0, -v22
	v_fma_f32 v45, v77, 2.0, -v37
	ds_write2_b32 v46, v29, v24 offset0:80 offset1:120
	ds_write2_b32 v51, v43, v10 offset1:40
	v_add_f32_e32 v10, v37, v60
	v_sub_f32_e32 v24, v84, v61
	v_sub_f32_e32 v61, v42, v40
	;; [unrolled: 1-line block ×3, first 2 shown]
	v_add3_u32 v2, v44, v12, v2
	v_fma_f32 v29, v37, 2.0, -v10
	v_sub_f32_e32 v37, v87, v41
	v_fma_f32 v27, v84, 2.0, -v24
	v_fma_f32 v40, v42, 2.0, -v61
	;; [unrolled: 1-line block ×3, first 2 shown]
	ds_write2_b32 v51, v22, v25 offset0:80 offset1:120
	ds_write2_b32 v2, v12, v29 offset1:40
	v_fma_f32 v12, v87, 2.0, -v37
	v_fma_f32 v22, v39, 2.0, -v63
	v_sub_f32_e32 v25, v27, v40
	ds_write2_b32 v2, v21, v10 offset0:80 offset1:120
	v_sub_f32_e32 v10, v81, v23
	v_add_f32_e32 v29, v37, v64
	v_sub_f32_e32 v21, v12, v22
	v_fma_f32 v22, v27, 2.0, -v25
	v_sub_f32_e32 v23, v35, v33
	v_add_f32_e32 v27, v24, v10
	v_fma_f32 v30, v37, 2.0, -v29
	v_fma_f32 v12, v12, 2.0, -v21
	v_add_nc_u32_e32 v33, 0x200, v46
	v_fma_f32 v28, v35, 2.0, -v23
	v_fma_f32 v24, v24, 2.0, -v27
	v_sub_f32_e32 v67, v78, v69
	ds_write2_b32 v46, v22, v12 offset0:168 offset1:184
	ds_write2_b32 v46, v24, v30 offset0:208 offset1:224
	;; [unrolled: 1-line block ×4, first 2 shown]
	s_waitcnt lgkmcnt(0)
	s_barrier
	buffer_gl0_inv
	ds_read_b32 v35, v0
	ds_read_b32 v45, v50
	;; [unrolled: 1-line block ×10, first 2 shown]
	ds_read2_b32 v[21:22], v46 offset0:160 offset1:176
	v_sub_f32_e32 v12, v28, v17
	v_sub_f32_e32 v17, v23, v26
	v_fma_f32 v58, v78, 2.0, -v67
	v_sub_f32_e32 v57, v67, v57
	v_fma_f32 v10, v81, 2.0, -v10
	v_fma_f32 v65, v28, 2.0, -v12
	;; [unrolled: 1-line block ×3, first 2 shown]
	ds_read2_b32 v[23:24], v46 offset0:192 offset1:208
	ds_read2_b32 v[25:26], v46 offset0:224 offset1:240
	ds_read2_b32 v[27:28], v54 offset1:16
	ds_read2_b32 v[29:30], v54 offset0:32 offset1:48
	v_sub_f32_e32 v34, v58, v34
	s_waitcnt lgkmcnt(0)
	s_barrier
	buffer_gl0_inv
	ds_write2_b32 v46, v12, v17 offset0:80 offset1:120
	v_fma_f32 v12, v58, 2.0, -v34
	v_fma_f32 v17, v80, 2.0, -v60
	;; [unrolled: 1-line block ×6, first 2 shown]
	ds_write2_b32 v46, v65, v66 offset1:40
	v_sub_f32_e32 v17, v58, v17
	ds_write2_b32 v51, v12, v60 offset1:40
	v_sub_f32_e32 v12, v31, v59
	v_sub_f32_e32 v10, v19, v10
	;; [unrolled: 1-line block ×5, first 2 shown]
	v_fma_f32 v58, v58, 2.0, -v17
	v_fma_f32 v31, v31, 2.0, -v12
	;; [unrolled: 1-line block ×6, first 2 shown]
	ds_write2_b32 v51, v34, v57 offset0:80 offset1:120
	ds_write2_b32 v2, v58, v31 offset1:40
	ds_write2_b32 v2, v17, v12 offset0:80 offset1:120
	ds_write2_b32 v46, v19, v61 offset0:168 offset1:184
	;; [unrolled: 1-line block ×5, first 2 shown]
	s_waitcnt lgkmcnt(0)
	s_barrier
	buffer_gl0_inv
	s_and_saveexec_b32 s0, vcc_lo
	s_cbranch_execz .LBB0_15
; %bb.14:
	v_mov_b32_e32 v19, v20
	v_mov_b32_e32 v12, v20
	;; [unrolled: 1-line block ×5, first 2 shown]
	v_lshlrev_b64 v[18:19], 3, v[18:19]
	v_lshlrev_b64 v[11:12], 3, v[11:12]
	;; [unrolled: 1-line block ×4, first 2 shown]
	v_add_nc_u32_e32 v62, 32, v1
	v_add_nc_u32_e32 v63, 48, v1
	v_add_co_u32 v18, vcc_lo, s12, v18
	v_add_co_ci_u32_e32 v19, vcc_lo, s13, v19, vcc_lo
	v_add_co_u32 v11, vcc_lo, s12, v11
	v_add_co_ci_u32_e32 v12, vcc_lo, s13, v12, vcc_lo
	v_add_co_u32 v33, vcc_lo, s12, v16
	v_mov_b32_e32 v16, v20
	v_add_co_ci_u32_e32 v34, vcc_lo, s13, v17, vcc_lo
	v_add_co_u32 v56, vcc_lo, s12, v9
	v_mov_b32_e32 v9, v20
	v_add_co_ci_u32_e32 v57, vcc_lo, s13, v10, vcc_lo
	v_lshlrev_b64 v[58:59], 3, v[15:16]
	v_mov_b32_e32 v15, v20
	s_clause 0x3
	global_load_dwordx2 v[31:32], v[18:19], off offset:1200
	global_load_dwordx2 v[18:19], v[11:12], off offset:1200
	;; [unrolled: 1-line block ×4, first 2 shown]
	v_lshlrev_b64 v[33:34], 3, v[8:9]
	v_mov_b32_e32 v8, v20
	v_add_co_u32 v56, vcc_lo, s12, v58
	v_lshlrev_b64 v[14:15], 3, v[14:15]
	v_add_co_ci_u32_e32 v57, vcc_lo, s13, v59, vcc_lo
	v_add_co_u32 v33, vcc_lo, s12, v33
	v_lshlrev_b64 v[7:8], 3, v[7:8]
	v_add_co_ci_u32_e32 v34, vcc_lo, s13, v34, vcc_lo
	v_add_co_u32 v58, vcc_lo, s12, v14
	v_add_co_ci_u32_e32 v59, vcc_lo, s13, v15, vcc_lo
	v_mov_b32_e32 v14, v20
	v_add_co_u32 v7, vcc_lo, s12, v7
	v_add_co_ci_u32_e32 v8, vcc_lo, s13, v8, vcc_lo
	v_lshlrev_b64 v[60:61], 3, v[13:14]
	s_clause 0x3
	global_load_dwordx2 v[56:57], v[56:57], off offset:1200
	global_load_dwordx2 v[14:15], v[33:34], off offset:1200
	global_load_dwordx2 v[12:13], v[58:59], off offset:1200
	global_load_dwordx2 v[7:8], v[7:8], off offset:1200
	v_lshlrev_b64 v[33:34], 3, v[1:2]
	v_mul_lo_u32 v9, s5, v5
	v_mul_lo_u32 v20, s4, v6
	v_mad_u64_u32 v[5:6], null, s4, v5, 0
	v_add_co_u32 v58, vcc_lo, s12, v60
	v_add_co_ci_u32_e32 v59, vcc_lo, s13, v61, vcc_lo
	v_add_co_u32 v60, vcc_lo, s12, v33
	v_add_co_ci_u32_e32 v61, vcc_lo, s13, v34, vcc_lo
	s_clause 0x1
	global_load_dwordx2 v[33:34], v[58:59], off offset:1200
	global_load_dwordx2 v[58:59], v[60:61], off offset:1200
	v_mul_hi_u32 v60, 0xcccccccd, v1
	v_add_nc_u32_e32 v61, 16, v1
	v_add_nc_u32_e32 v64, 64, v1
	;; [unrolled: 1-line block ×3, first 2 shown]
	v_mul_hi_u32 v67, 0xcccccccd, v62
	v_mul_hi_u32 v68, 0xcccccccd, v63
	;; [unrolled: 1-line block ×3, first 2 shown]
	v_lshlrev_b64 v[2:3], 3, v[3:4]
	v_lshrrev_b32_e32 v4, 7, v60
	v_add3_u32 v6, v6, v20, v9
	v_mul_hi_u32 v9, 0xcccccccd, v64
	v_mul_hi_u32 v20, 0xcccccccd, v65
	v_lshrrev_b32_e32 v67, 7, v67
	v_mul_lo_u32 v60, 0xa0, v4
	v_lshlrev_b64 v[4:5], 3, v[5:6]
	v_lshrrev_b32_e32 v66, 7, v66
	v_lshrrev_b32_e32 v68, 7, v68
	v_add_nc_u32_e32 v92, 0x60, v1
	v_lshrrev_b32_e32 v69, 7, v9
	v_lshrrev_b32_e32 v70, 7, v20
	v_mul_lo_u32 v6, 0xa0, v66
	v_mul_lo_u32 v9, 0xa0, v67
	;; [unrolled: 1-line block ×3, first 2 shown]
	v_add_co_u32 v4, vcc_lo, s10, v4
	v_add_co_ci_u32_e32 v5, vcc_lo, s11, v5, vcc_lo
	v_mul_lo_u32 v71, 0xa0, v69
	v_add_co_u32 v93, vcc_lo, v4, v2
	v_mul_lo_u32 v72, 0xa0, v70
	v_sub_nc_u32_e32 v73, v1, v60
	v_add_co_ci_u32_e32 v94, vcc_lo, v5, v3, vcc_lo
	v_sub_nc_u32_e32 v4, v61, v6
	v_sub_nc_u32_e32 v5, v62, v9
	;; [unrolled: 1-line block ×3, first 2 shown]
	v_mad_u64_u32 v[2:3], null, s2, v73, 0
	v_sub_nc_u32_e32 v9, v64, v71
	v_mad_u64_u32 v[62:63], null, 0x140, v66, v[4:5]
	v_mad_u64_u32 v[4:5], null, 0x140, v67, v[5:6]
	v_sub_nc_u32_e32 v20, v65, v72
	v_add_nc_u32_e32 v74, 0xa0, v73
	v_mad_u64_u32 v[60:61], null, s2, v74, 0
	v_add_nc_u32_e32 v88, 0xa0, v4
	s_waitcnt vmcnt(6)
	v_mad_u64_u32 v[63:64], null, 0x140, v69, v[9:10]
	v_mad_u64_u32 v[64:65], null, 0x140, v70, v[20:21]
	v_mad_u64_u32 v[65:66], null, s3, v73, v[3:4]
	v_mad_u64_u32 v[66:67], null, s2, v62, 0
	v_mov_b32_e32 v3, v61
	v_add_nc_u32_e32 v20, 0xa0, v62
	v_mad_u64_u32 v[72:73], null, s2, v63, 0
	v_add_nc_u32_e32 v90, 0xa0, v63
	v_mad_u64_u32 v[74:75], null, s3, v74, v[3:4]
	v_mad_u64_u32 v[75:76], null, s2, v64, 0
	;; [unrolled: 1-line block ×3, first 2 shown]
	v_mov_b32_e32 v3, v65
	v_mov_b32_e32 v61, v74
	s_waitcnt vmcnt(2)
	v_mad_u64_u32 v[5:6], null, 0x140, v68, v[6:7]
	v_mad_u64_u32 v[68:69], null, s2, v4, 0
	v_mov_b32_e32 v6, v67
	v_lshlrev_b64 v[2:3], 3, v[2:3]
	v_mad_u64_u32 v[70:71], null, s2, v5, 0
	v_mad_u64_u32 v[79:80], null, s3, v62, v[6:7]
	v_mov_b32_e32 v9, v69
	v_add_nc_u32_e32 v89, 0xa0, v5
	v_add_co_u32 v2, vcc_lo, v93, v2
	v_mov_b32_e32 v6, v71
	v_mad_u64_u32 v[80:81], null, s3, v4, v[9:10]
	v_mov_b32_e32 v4, v73
	v_mad_u64_u32 v[81:82], null, s2, v88, 0
	v_mad_u64_u32 v[5:6], null, s3, v5, v[6:7]
	v_mov_b32_e32 v6, v78
	v_mov_b32_e32 v67, v79
	;; [unrolled: 1-line block ×3, first 2 shown]
	v_mad_u64_u32 v[79:80], null, s2, v90, 0
	v_mad_u64_u32 v[83:84], null, s3, v20, v[6:7]
	;; [unrolled: 1-line block ×3, first 2 shown]
	v_mov_b32_e32 v4, v76
	v_mov_b32_e32 v71, v5
	v_mad_u64_u32 v[84:85], null, s2, v89, 0
	v_mul_hi_u32 v20, 0xcccccccd, v92
	v_mad_u64_u32 v[86:87], null, s3, v64, v[4:5]
	v_lshlrev_b64 v[5:6], 3, v[60:61]
	v_mov_b32_e32 v4, v82
	v_mov_b32_e32 v73, v62
	;; [unrolled: 1-line block ×3, first 2 shown]
	v_add_co_ci_u32_e32 v3, vcc_lo, v94, v3, vcc_lo
	v_mad_u64_u32 v[60:61], null, s3, v88, v[4:5]
	ds_read2_b32 v[61:62], v54 offset0:32 offset1:48
	v_mov_b32_e32 v76, v86
	v_mad_u64_u32 v[85:86], null, s3, v89, v[9:10]
	v_add_co_u32 v4, vcc_lo, v93, v5
	ds_read2_b32 v[86:87], v54 offset1:16
	v_add_co_ci_u32_e32 v5, vcc_lo, v94, v6, vcc_lo
	v_mov_b32_e32 v6, v80
	v_lshrrev_b32_e32 v9, 7, v20
	v_mov_b32_e32 v82, v60
	ds_read2_b32 v[88:89], v46 offset0:224 offset1:240
	v_mul_f32_e32 v20, v30, v32
	v_mad_u64_u32 v[90:91], null, s3, v90, v[6:7]
	v_mul_lo_u32 v6, 0xa0, v9
	ds_read_b32 v54, v53
	ds_read_b32 v60, v52
	v_lshlrev_b64 v[52:53], 3, v[66:67]
	v_lshlrev_b64 v[65:66], 3, v[68:69]
	s_waitcnt lgkmcnt(4)
	v_mul_f32_e32 v32, v62, v32
	v_lshlrev_b64 v[67:68], 3, v[70:71]
	v_lshlrev_b64 v[69:70], 3, v[72:73]
	;; [unrolled: 1-line block ×3, first 2 shown]
	ds_read2_b32 v[81:82], v46 offset0:192 offset1:208
	v_fma_f32 v62, v62, v31, -v20
	v_fmac_f32_e32 v32, v30, v31
	ds_read2_b32 v[30:31], v46 offset0:160 offset1:176
	v_mul_f32_e32 v20, v29, v19
	v_add_nc_u32_e32 v63, 0xa0, v64
	v_mov_b32_e32 v78, v83
	v_sub_nc_u32_e32 v6, v92, v6
	v_mul_f32_e32 v64, v61, v19
	v_fma_f32 v61, v61, v18, -v20
	v_mad_u64_u32 v[19:20], null, s2, v63, 0
	v_lshlrev_b64 v[71:72], 3, v[77:78]
	v_lshlrev_b64 v[77:78], 3, v[84:85]
	ds_read_b32 v50, v50
	ds_read_b32 v83, v49
	;; [unrolled: 1-line block ×8, first 2 shown]
	v_mad_u64_u32 v[46:47], null, 0x140, v9, v[6:7]
	v_mul_f32_e32 v6, v28, v17
	v_fmac_f32_e32 v64, v29, v18
	s_waitcnt lgkmcnt(13)
	v_mul_f32_e32 v29, v87, v17
	v_mov_b32_e32 v0, v20
	v_mul_f32_e32 v9, v27, v11
	v_fma_f32 v20, v87, v16, -v6
	v_mul_f32_e32 v6, v26, v57
	v_fmac_f32_e32 v29, v28, v16
	v_mul_f32_e32 v16, v86, v11
	s_waitcnt lgkmcnt(12)
	v_mul_f32_e32 v47, v89, v57
	v_add_co_u32 v52, vcc_lo, v93, v52
	v_fma_f32 v28, v86, v10, -v9
	v_mul_f32_e32 v9, v25, v15
	v_fmac_f32_e32 v16, v27, v10
	v_mul_f32_e32 v27, v88, v15
	v_mul_f32_e32 v11, v23, v8
	v_fma_f32 v15, v89, v56, -v6
	v_fmac_f32_e32 v47, v26, v56
	s_waitcnt lgkmcnt(9)
	v_mul_f32_e32 v56, v81, v8
	s_waitcnt vmcnt(0)
	v_mul_f32_e32 v8, v21, v59
	s_waitcnt lgkmcnt(8)
	v_mul_f32_e32 v57, v30, v59
	v_add_co_ci_u32_e32 v53, vcc_lo, v94, v53, vcc_lo
	v_mul_f32_e32 v6, v22, v34
	v_mul_f32_e32 v34, v31, v34
	v_add_co_u32 v65, vcc_lo, v93, v65
	v_mul_f32_e32 v10, v24, v13
	v_add_co_ci_u32_e32 v66, vcc_lo, v94, v66, vcc_lo
	v_mul_f32_e32 v49, v82, v13
	v_fma_f32 v30, v30, v58, -v8
	v_fmac_f32_e32 v57, v21, v58
	v_add_co_u32 v67, vcc_lo, v93, v67
	v_fmac_f32_e32 v27, v25, v14
	v_fma_f32 v31, v31, v33, -v6
	v_fmac_f32_e32 v34, v22, v33
	v_add_co_ci_u32_e32 v68, vcc_lo, v94, v68, vcc_lo
	v_add_co_u32 v69, vcc_lo, v93, v69
	v_fma_f32 v26, v88, v14, -v9
	v_fma_f32 v25, v82, v12, -v10
	v_fma_f32 v59, v81, v7, -v11
	v_fmac_f32_e32 v56, v23, v7
	v_fmac_f32_e32 v49, v24, v12
	v_sub_f32_e32 v10, v44, v29
	v_sub_f32_e32 v12, v43, v16
	s_waitcnt lgkmcnt(1)
	v_sub_f32_e32 v15, v36, v15
	s_waitcnt lgkmcnt(0)
	v_sub_f32_e32 v30, v85, v30
	v_sub_f32_e32 v29, v35, v57
	v_mov_b32_e32 v80, v90
	v_add_co_ci_u32_e32 v70, vcc_lo, v94, v70, vcc_lo
	v_add_co_u32 v71, vcc_lo, v93, v71
	v_sub_f32_e32 v7, v54, v62
	v_sub_f32_e32 v6, v55, v32
	;; [unrolled: 1-line block ×6, first 2 shown]
	v_add_co_ci_u32_e32 v72, vcc_lo, v94, v72, vcc_lo
	v_sub_f32_e32 v8, v45, v64
	v_sub_f32_e32 v11, v48, v20
	;; [unrolled: 1-line block ×6, first 2 shown]
	v_add_co_u32 v73, vcc_lo, v93, v73
	v_sub_f32_e32 v14, v42, v47
	v_sub_f32_e32 v23, v40, v49
	v_fma_f32 v47, v43, 2.0, -v12
	v_fma_f32 v43, v36, 2.0, -v15
	;; [unrolled: 1-line block ×4, first 2 shown]
	v_lshlrev_b64 v[17:18], 3, v[79:80]
	v_add_co_ci_u32_e32 v74, vcc_lo, v94, v74, vcc_lo
	v_fma_f32 v32, v54, 2.0, -v7
	v_fma_f32 v31, v55, 2.0, -v6
	;; [unrolled: 1-line block ×4, first 2 shown]
	v_add_co_u32 v77, vcc_lo, v93, v77
	v_fma_f32 v33, v45, 2.0, -v8
	v_fma_f32 v45, v48, 2.0, -v11
	;; [unrolled: 1-line block ×5, first 2 shown]
	v_add_co_ci_u32_e32 v78, vcc_lo, v94, v78, vcc_lo
	v_fma_f32 v49, v41, 2.0, -v21
	v_fma_f32 v41, v83, 2.0, -v24
	;; [unrolled: 1-line block ×3, first 2 shown]
	global_store_dwordx2 v[2:3], v[35:36], off
	global_store_dwordx2 v[4:5], v[29:30], off
	global_store_dwordx2 v[52:53], v[54:55], off
	global_store_dwordx2 v[71:72], v[27:28], off
	global_store_dwordx2 v[65:66], v[37:38], off
	global_store_dwordx2 v[73:74], v[25:26], off
	global_store_dwordx2 v[67:68], v[40:41], off
	global_store_dwordx2 v[77:78], v[23:24], off
	v_add_nc_u32_e32 v27, 0x70, v1
	v_add_co_u32 v2, vcc_lo, v93, v17
	v_mad_u64_u32 v[16:17], null, s3, v63, v[0:1]
	v_add_co_ci_u32_e32 v3, vcc_lo, v94, v18, vcc_lo
	v_mad_u64_u32 v[17:18], null, s2, v46, 0
	v_mul_hi_u32 v23, 0xcccccccd, v27
	v_lshlrev_b64 v[4:5], 3, v[75:76]
	v_sub_f32_e32 v9, v50, v61
	v_mov_b32_e32 v20, v16
	v_fma_f32 v42, v42, 2.0, -v14
	v_add_nc_u32_e32 v28, 0xa0, v46
	v_mov_b32_e32 v0, v18
	v_fma_f32 v34, v50, 2.0, -v9
	v_lshrrev_b32_e32 v16, 7, v23
	v_fma_f32 v50, v60, 2.0, -v22
	v_add_co_u32 v4, vcc_lo, v93, v4
	v_mad_u64_u32 v[25:26], null, s3, v46, v[0:1]
	v_add_co_ci_u32_e32 v5, vcc_lo, v94, v5, vcc_lo
	v_mul_lo_u32 v26, 0xa0, v16
	global_store_dwordx2 v[69:70], v[49:50], off
	global_store_dwordx2 v[2:3], v[21:22], off
	;; [unrolled: 1-line block ×3, first 2 shown]
	v_add_nc_u32_e32 v22, 0x80, v1
	v_mad_u64_u32 v[23:24], null, s2, v28, 0
	v_mov_b32_e32 v18, v25
	v_lshlrev_b64 v[2:3], 3, v[19:20]
	v_mul_hi_u32 v21, 0xcccccccd, v22
	v_sub_nc_u32_e32 v4, v27, v26
	v_add_nc_u32_e32 v26, 0x90, v1
	v_fma_f32 v44, v44, 2.0, -v10
	v_mov_b32_e32 v0, v24
	v_add_co_u32 v2, vcc_lo, v93, v2
	v_mad_u64_u32 v[4:5], null, 0x140, v16, v[4:5]
	v_lshrrev_b32_e32 v25, 7, v21
	v_mad_u64_u32 v[19:20], null, s3, v28, v[0:1]
	v_lshlrev_b64 v[16:17], 3, v[17:18]
	v_add_co_ci_u32_e32 v3, vcc_lo, v94, v3, vcc_lo
	v_mad_u64_u32 v[20:21], null, s2, v4, 0
	v_mul_lo_u32 v18, 0xa0, v25
	v_mov_b32_e32 v24, v19
	v_mul_hi_u32 v19, 0xcccccccd, v26
	v_add_co_u32 v0, vcc_lo, v93, v16
	v_add_co_ci_u32_e32 v1, vcc_lo, v94, v17, vcc_lo
	v_mov_b32_e32 v5, v21
	v_sub_nc_u32_e32 v18, v22, v18
	v_lshlrev_b64 v[16:17], 3, v[23:24]
	v_add_nc_u32_e32 v24, 0xa0, v4
	v_mad_u64_u32 v[21:22], null, s3, v4, v[5:6]
	v_mad_u64_u32 v[4:5], null, 0x140, v25, v[18:19]
	v_lshrrev_b32_e32 v25, 7, v19
	v_mad_u64_u32 v[18:19], null, s2, v24, 0
	v_add_co_u32 v16, vcc_lo, v93, v16
	v_mul_lo_u32 v5, 0xa0, v25
	v_add_co_ci_u32_e32 v17, vcc_lo, v94, v17, vcc_lo
	v_mad_u64_u32 v[22:23], null, s2, v4, 0
	global_store_dwordx2 v[2:3], v[14:15], off
	global_store_dwordx2 v[0:1], v[47:48], off
	;; [unrolled: 1-line block ×3, first 2 shown]
	v_add_nc_u32_e32 v17, 0xa0, v4
	v_mov_b32_e32 v2, v19
	v_sub_nc_u32_e32 v3, v26, v5
	v_lshlrev_b64 v[0:1], 3, v[20:21]
	v_mad_u64_u32 v[12:13], null, s2, v17, 0
	v_mad_u64_u32 v[14:15], null, 0x140, v25, v[3:4]
	v_mov_b32_e32 v5, v23
	v_mad_u64_u32 v[2:3], null, s3, v24, v[2:3]
	v_add_co_u32 v0, vcc_lo, v93, v0
	v_mad_u64_u32 v[3:4], null, s3, v4, v[5:6]
	v_mov_b32_e32 v4, v13
	v_mad_u64_u32 v[15:16], null, s2, v14, 0
	v_add_nc_u32_e32 v24, 0xa0, v14
	v_add_co_ci_u32_e32 v1, vcc_lo, v94, v1, vcc_lo
	v_mov_b32_e32 v19, v2
	v_mad_u64_u32 v[4:5], null, s3, v17, v[4:5]
	v_mad_u64_u32 v[20:21], null, s2, v24, 0
	global_store_dwordx2 v[0:1], v[44:45], off
	v_lshlrev_b64 v[1:2], 3, v[18:19]
	v_mov_b32_e32 v0, v16
	v_mov_b32_e32 v23, v3
	;; [unrolled: 1-line block ×3, first 2 shown]
	v_mad_u64_u32 v[3:4], null, s3, v14, v[0:1]
	v_mov_b32_e32 v0, v21
	v_add_co_u32 v1, vcc_lo, v93, v1
	v_lshlrev_b64 v[4:5], 3, v[22:23]
	v_lshlrev_b64 v[12:13], 3, v[12:13]
	v_add_co_ci_u32_e32 v2, vcc_lo, v94, v2, vcc_lo
	v_mad_u64_u32 v[17:18], null, s3, v24, v[0:1]
	v_mov_b32_e32 v16, v3
	v_add_co_u32 v3, vcc_lo, v93, v4
	v_add_co_ci_u32_e32 v4, vcc_lo, v94, v5, vcc_lo
	v_lshlrev_b64 v[14:15], 3, v[15:16]
	v_mov_b32_e32 v21, v17
	v_add_co_u32 v12, vcc_lo, v93, v12
	v_add_co_ci_u32_e32 v13, vcc_lo, v94, v13, vcc_lo
	v_lshlrev_b64 v[16:17], 3, v[20:21]
	v_add_co_u32 v14, vcc_lo, v93, v14
	v_add_co_ci_u32_e32 v15, vcc_lo, v94, v15, vcc_lo
	v_add_co_u32 v16, vcc_lo, v93, v16
	v_add_co_ci_u32_e32 v17, vcc_lo, v94, v17, vcc_lo
	global_store_dwordx2 v[1:2], v[10:11], off
	global_store_dwordx2 v[3:4], v[33:34], off
	;; [unrolled: 1-line block ×5, first 2 shown]
.LBB0_15:
	s_endpgm
	.section	.rodata,"a",@progbits
	.p2align	6, 0x0
	.amdhsa_kernel fft_rtc_back_len320_factors_10_4_4_2_wgs_64_tpt_16_halfLds_sp_op_CI_CI_sbrr_dirReg
		.amdhsa_group_segment_fixed_size 0
		.amdhsa_private_segment_fixed_size 0
		.amdhsa_kernarg_size 104
		.amdhsa_user_sgpr_count 6
		.amdhsa_user_sgpr_private_segment_buffer 1
		.amdhsa_user_sgpr_dispatch_ptr 0
		.amdhsa_user_sgpr_queue_ptr 0
		.amdhsa_user_sgpr_kernarg_segment_ptr 1
		.amdhsa_user_sgpr_dispatch_id 0
		.amdhsa_user_sgpr_flat_scratch_init 0
		.amdhsa_user_sgpr_private_segment_size 0
		.amdhsa_wavefront_size32 1
		.amdhsa_uses_dynamic_stack 0
		.amdhsa_system_sgpr_private_segment_wavefront_offset 0
		.amdhsa_system_sgpr_workgroup_id_x 1
		.amdhsa_system_sgpr_workgroup_id_y 0
		.amdhsa_system_sgpr_workgroup_id_z 0
		.amdhsa_system_sgpr_workgroup_info 0
		.amdhsa_system_vgpr_workitem_id 0
		.amdhsa_next_free_vgpr 95
		.amdhsa_next_free_sgpr 31
		.amdhsa_reserve_vcc 1
		.amdhsa_reserve_flat_scratch 0
		.amdhsa_float_round_mode_32 0
		.amdhsa_float_round_mode_16_64 0
		.amdhsa_float_denorm_mode_32 3
		.amdhsa_float_denorm_mode_16_64 3
		.amdhsa_dx10_clamp 1
		.amdhsa_ieee_mode 1
		.amdhsa_fp16_overflow 0
		.amdhsa_workgroup_processor_mode 1
		.amdhsa_memory_ordered 1
		.amdhsa_forward_progress 0
		.amdhsa_shared_vgpr_count 0
		.amdhsa_exception_fp_ieee_invalid_op 0
		.amdhsa_exception_fp_denorm_src 0
		.amdhsa_exception_fp_ieee_div_zero 0
		.amdhsa_exception_fp_ieee_overflow 0
		.amdhsa_exception_fp_ieee_underflow 0
		.amdhsa_exception_fp_ieee_inexact 0
		.amdhsa_exception_int_div_zero 0
	.end_amdhsa_kernel
	.text
.Lfunc_end0:
	.size	fft_rtc_back_len320_factors_10_4_4_2_wgs_64_tpt_16_halfLds_sp_op_CI_CI_sbrr_dirReg, .Lfunc_end0-fft_rtc_back_len320_factors_10_4_4_2_wgs_64_tpt_16_halfLds_sp_op_CI_CI_sbrr_dirReg
                                        ; -- End function
	.section	.AMDGPU.csdata,"",@progbits
; Kernel info:
; codeLenInByte = 10704
; NumSgprs: 33
; NumVgprs: 95
; ScratchSize: 0
; MemoryBound: 0
; FloatMode: 240
; IeeeMode: 1
; LDSByteSize: 0 bytes/workgroup (compile time only)
; SGPRBlocks: 4
; VGPRBlocks: 11
; NumSGPRsForWavesPerEU: 33
; NumVGPRsForWavesPerEU: 95
; Occupancy: 10
; WaveLimiterHint : 1
; COMPUTE_PGM_RSRC2:SCRATCH_EN: 0
; COMPUTE_PGM_RSRC2:USER_SGPR: 6
; COMPUTE_PGM_RSRC2:TRAP_HANDLER: 0
; COMPUTE_PGM_RSRC2:TGID_X_EN: 1
; COMPUTE_PGM_RSRC2:TGID_Y_EN: 0
; COMPUTE_PGM_RSRC2:TGID_Z_EN: 0
; COMPUTE_PGM_RSRC2:TIDIG_COMP_CNT: 0
	.text
	.p2alignl 6, 3214868480
	.fill 48, 4, 3214868480
	.type	__hip_cuid_24a977f643de48f6,@object ; @__hip_cuid_24a977f643de48f6
	.section	.bss,"aw",@nobits
	.globl	__hip_cuid_24a977f643de48f6
__hip_cuid_24a977f643de48f6:
	.byte	0                               ; 0x0
	.size	__hip_cuid_24a977f643de48f6, 1

	.ident	"AMD clang version 19.0.0git (https://github.com/RadeonOpenCompute/llvm-project roc-6.4.0 25133 c7fe45cf4b819c5991fe208aaa96edf142730f1d)"
	.section	".note.GNU-stack","",@progbits
	.addrsig
	.addrsig_sym __hip_cuid_24a977f643de48f6
	.amdgpu_metadata
---
amdhsa.kernels:
  - .args:
      - .actual_access:  read_only
        .address_space:  global
        .offset:         0
        .size:           8
        .value_kind:     global_buffer
      - .offset:         8
        .size:           8
        .value_kind:     by_value
      - .actual_access:  read_only
        .address_space:  global
        .offset:         16
        .size:           8
        .value_kind:     global_buffer
      - .actual_access:  read_only
        .address_space:  global
        .offset:         24
        .size:           8
        .value_kind:     global_buffer
      - .actual_access:  read_only
        .address_space:  global
        .offset:         32
        .size:           8
        .value_kind:     global_buffer
      - .offset:         40
        .size:           8
        .value_kind:     by_value
      - .actual_access:  read_only
        .address_space:  global
        .offset:         48
        .size:           8
        .value_kind:     global_buffer
      - .actual_access:  read_only
        .address_space:  global
        .offset:         56
        .size:           8
        .value_kind:     global_buffer
      - .offset:         64
        .size:           4
        .value_kind:     by_value
      - .actual_access:  read_only
        .address_space:  global
        .offset:         72
        .size:           8
        .value_kind:     global_buffer
      - .actual_access:  read_only
        .address_space:  global
        .offset:         80
        .size:           8
        .value_kind:     global_buffer
      - .actual_access:  read_only
        .address_space:  global
        .offset:         88
        .size:           8
        .value_kind:     global_buffer
      - .actual_access:  write_only
        .address_space:  global
        .offset:         96
        .size:           8
        .value_kind:     global_buffer
    .group_segment_fixed_size: 0
    .kernarg_segment_align: 8
    .kernarg_segment_size: 104
    .language:       OpenCL C
    .language_version:
      - 2
      - 0
    .max_flat_workgroup_size: 64
    .name:           fft_rtc_back_len320_factors_10_4_4_2_wgs_64_tpt_16_halfLds_sp_op_CI_CI_sbrr_dirReg
    .private_segment_fixed_size: 0
    .sgpr_count:     33
    .sgpr_spill_count: 0
    .symbol:         fft_rtc_back_len320_factors_10_4_4_2_wgs_64_tpt_16_halfLds_sp_op_CI_CI_sbrr_dirReg.kd
    .uniform_work_group_size: 1
    .uses_dynamic_stack: false
    .vgpr_count:     95
    .vgpr_spill_count: 0
    .wavefront_size: 32
    .workgroup_processor_mode: 1
amdhsa.target:   amdgcn-amd-amdhsa--gfx1030
amdhsa.version:
  - 1
  - 2
...

	.end_amdgpu_metadata
